;; amdgpu-corpus repo=ROCm/rocFFT kind=compiled arch=gfx950 opt=O3
	.text
	.amdgcn_target "amdgcn-amd-amdhsa--gfx950"
	.amdhsa_code_object_version 6
	.protected	fft_rtc_back_len1352_factors_2_13_13_4_wgs_52_tpt_52_halfLds_sp_ip_CI_unitstride_sbrr_dirReg ; -- Begin function fft_rtc_back_len1352_factors_2_13_13_4_wgs_52_tpt_52_halfLds_sp_ip_CI_unitstride_sbrr_dirReg
	.globl	fft_rtc_back_len1352_factors_2_13_13_4_wgs_52_tpt_52_halfLds_sp_ip_CI_unitstride_sbrr_dirReg
	.p2align	8
	.type	fft_rtc_back_len1352_factors_2_13_13_4_wgs_52_tpt_52_halfLds_sp_ip_CI_unitstride_sbrr_dirReg,@function
fft_rtc_back_len1352_factors_2_13_13_4_wgs_52_tpt_52_halfLds_sp_ip_CI_unitstride_sbrr_dirReg: ; @fft_rtc_back_len1352_factors_2_13_13_4_wgs_52_tpt_52_halfLds_sp_ip_CI_unitstride_sbrr_dirReg
; %bb.0:
	s_load_dwordx2 s[8:9], s[0:1], 0x50
	s_load_dwordx4 s[4:7], s[0:1], 0x0
	s_load_dwordx2 s[10:11], s[0:1], 0x18
	v_mul_u32_u24_e32 v1, 0x4ed, v0
	v_add_u32_sdwa v6, s2, v1 dst_sel:DWORD dst_unused:UNUSED_PAD src0_sel:DWORD src1_sel:WORD_1
	v_mov_b32_e32 v4, 0
	s_waitcnt lgkmcnt(0)
	v_cmp_lt_u64_e64 s[2:3], s[6:7], 2
	v_mov_b32_e32 v7, v4
	s_and_b64 vcc, exec, s[2:3]
	v_mov_b64_e32 v[2:3], 0
	s_cbranch_vccnz .LBB0_8
; %bb.1:
	s_load_dwordx2 s[2:3], s[0:1], 0x10
	s_add_u32 s12, s10, 8
	s_addc_u32 s13, s11, 0
	s_mov_b64 s[14:15], 1
	v_mov_b64_e32 v[2:3], 0
	s_waitcnt lgkmcnt(0)
	s_add_u32 s16, s2, 8
	s_addc_u32 s17, s3, 0
.LBB0_2:                                ; =>This Inner Loop Header: Depth=1
	s_load_dwordx2 s[18:19], s[16:17], 0x0
                                        ; implicit-def: $vgpr8_vgpr9
	s_waitcnt lgkmcnt(0)
	v_or_b32_e32 v5, s19, v7
	v_cmp_ne_u64_e32 vcc, 0, v[4:5]
	s_and_saveexec_b64 s[2:3], vcc
	s_xor_b64 s[20:21], exec, s[2:3]
	s_cbranch_execz .LBB0_4
; %bb.3:                                ;   in Loop: Header=BB0_2 Depth=1
	v_cvt_f32_u32_e32 v1, s18
	v_cvt_f32_u32_e32 v5, s19
	s_sub_u32 s2, 0, s18
	s_subb_u32 s3, 0, s19
	v_fmac_f32_e32 v1, 0x4f800000, v5
	v_rcp_f32_e32 v1, v1
	s_nop 0
	v_mul_f32_e32 v1, 0x5f7ffffc, v1
	v_mul_f32_e32 v5, 0x2f800000, v1
	v_trunc_f32_e32 v5, v5
	v_fmac_f32_e32 v1, 0xcf800000, v5
	v_cvt_u32_f32_e32 v5, v5
	v_cvt_u32_f32_e32 v1, v1
	v_mul_lo_u32 v8, s2, v5
	v_mul_hi_u32 v10, s2, v1
	v_mul_lo_u32 v9, s3, v1
	v_add_u32_e32 v10, v10, v8
	v_mul_lo_u32 v12, s2, v1
	v_add_u32_e32 v13, v10, v9
	v_mul_hi_u32 v8, v1, v12
	v_mul_hi_u32 v11, v1, v13
	v_mul_lo_u32 v10, v1, v13
	v_mov_b32_e32 v9, v4
	v_lshl_add_u64 v[8:9], v[8:9], 0, v[10:11]
	v_mul_hi_u32 v11, v5, v12
	v_mul_lo_u32 v12, v5, v12
	v_add_co_u32_e32 v8, vcc, v8, v12
	v_mul_hi_u32 v10, v5, v13
	s_nop 0
	v_addc_co_u32_e32 v8, vcc, v9, v11, vcc
	v_mov_b32_e32 v9, v4
	s_nop 0
	v_addc_co_u32_e32 v11, vcc, 0, v10, vcc
	v_mul_lo_u32 v10, v5, v13
	v_lshl_add_u64 v[8:9], v[8:9], 0, v[10:11]
	v_add_co_u32_e32 v1, vcc, v1, v8
	v_mul_lo_u32 v10, s2, v1
	s_nop 0
	v_addc_co_u32_e32 v5, vcc, v5, v9, vcc
	v_mul_lo_u32 v8, s2, v5
	v_mul_hi_u32 v9, s2, v1
	v_add_u32_e32 v8, v9, v8
	v_mul_lo_u32 v9, s3, v1
	v_add_u32_e32 v12, v8, v9
	v_mul_hi_u32 v14, v5, v10
	v_mul_lo_u32 v15, v5, v10
	v_mul_hi_u32 v9, v1, v12
	v_mul_lo_u32 v8, v1, v12
	v_mul_hi_u32 v10, v1, v10
	v_mov_b32_e32 v11, v4
	v_lshl_add_u64 v[8:9], v[10:11], 0, v[8:9]
	v_add_co_u32_e32 v8, vcc, v8, v15
	v_mul_hi_u32 v13, v5, v12
	s_nop 0
	v_addc_co_u32_e32 v8, vcc, v9, v14, vcc
	v_mul_lo_u32 v10, v5, v12
	s_nop 0
	v_addc_co_u32_e32 v11, vcc, 0, v13, vcc
	v_mov_b32_e32 v9, v4
	v_lshl_add_u64 v[8:9], v[8:9], 0, v[10:11]
	v_add_co_u32_e32 v1, vcc, v1, v8
	v_mul_hi_u32 v10, v6, v1
	s_nop 0
	v_addc_co_u32_e32 v5, vcc, v5, v9, vcc
	v_mad_u64_u32 v[8:9], s[2:3], v6, v5, 0
	v_mov_b32_e32 v11, v4
	v_lshl_add_u64 v[8:9], v[10:11], 0, v[8:9]
	v_mad_u64_u32 v[12:13], s[2:3], v7, v1, 0
	v_add_co_u32_e32 v1, vcc, v8, v12
	v_mad_u64_u32 v[10:11], s[2:3], v7, v5, 0
	s_nop 0
	v_addc_co_u32_e32 v8, vcc, v9, v13, vcc
	v_mov_b32_e32 v9, v4
	s_nop 0
	v_addc_co_u32_e32 v11, vcc, 0, v11, vcc
	v_lshl_add_u64 v[8:9], v[8:9], 0, v[10:11]
	v_mul_lo_u32 v1, s19, v8
	v_mul_lo_u32 v5, s18, v9
	v_mad_u64_u32 v[10:11], s[2:3], s18, v8, 0
	v_add3_u32 v1, v11, v5, v1
	v_sub_u32_e32 v5, v7, v1
	v_mov_b32_e32 v11, s19
	v_sub_co_u32_e32 v14, vcc, v6, v10
	v_lshl_add_u64 v[12:13], v[8:9], 0, 1
	s_nop 0
	v_subb_co_u32_e64 v5, s[2:3], v5, v11, vcc
	v_subrev_co_u32_e64 v10, s[2:3], s18, v14
	v_subb_co_u32_e32 v1, vcc, v7, v1, vcc
	s_nop 0
	v_subbrev_co_u32_e64 v5, s[2:3], 0, v5, s[2:3]
	v_cmp_le_u32_e64 s[2:3], s19, v5
	v_cmp_le_u32_e32 vcc, s19, v1
	s_nop 0
	v_cndmask_b32_e64 v11, 0, -1, s[2:3]
	v_cmp_le_u32_e64 s[2:3], s18, v10
	s_nop 1
	v_cndmask_b32_e64 v10, 0, -1, s[2:3]
	v_cmp_eq_u32_e64 s[2:3], s19, v5
	s_nop 1
	v_cndmask_b32_e64 v5, v11, v10, s[2:3]
	v_lshl_add_u64 v[10:11], v[8:9], 0, 2
	v_cmp_ne_u32_e64 s[2:3], 0, v5
	s_nop 1
	v_cndmask_b32_e64 v5, v13, v11, s[2:3]
	v_cndmask_b32_e64 v11, 0, -1, vcc
	v_cmp_le_u32_e32 vcc, s18, v14
	s_nop 1
	v_cndmask_b32_e64 v13, 0, -1, vcc
	v_cmp_eq_u32_e32 vcc, s19, v1
	s_nop 1
	v_cndmask_b32_e32 v1, v11, v13, vcc
	v_cmp_ne_u32_e32 vcc, 0, v1
	v_cndmask_b32_e64 v1, v12, v10, s[2:3]
	s_nop 0
	v_cndmask_b32_e32 v9, v9, v5, vcc
	v_cndmask_b32_e32 v8, v8, v1, vcc
.LBB0_4:                                ;   in Loop: Header=BB0_2 Depth=1
	s_andn2_saveexec_b64 s[2:3], s[20:21]
	s_cbranch_execz .LBB0_6
; %bb.5:                                ;   in Loop: Header=BB0_2 Depth=1
	v_cvt_f32_u32_e32 v1, s18
	s_sub_i32 s20, 0, s18
	v_rcp_iflag_f32_e32 v1, v1
	s_nop 0
	v_mul_f32_e32 v1, 0x4f7ffffe, v1
	v_cvt_u32_f32_e32 v1, v1
	v_mul_lo_u32 v5, s20, v1
	v_mul_hi_u32 v5, v1, v5
	v_add_u32_e32 v1, v1, v5
	v_mul_hi_u32 v1, v6, v1
	v_mul_lo_u32 v5, v1, s18
	v_sub_u32_e32 v5, v6, v5
	v_add_u32_e32 v8, 1, v1
	v_subrev_u32_e32 v9, s18, v5
	v_cmp_le_u32_e32 vcc, s18, v5
	s_nop 1
	v_cndmask_b32_e32 v5, v5, v9, vcc
	v_cndmask_b32_e32 v1, v1, v8, vcc
	v_add_u32_e32 v8, 1, v1
	v_cmp_le_u32_e32 vcc, s18, v5
	v_mov_b32_e32 v9, v4
	s_nop 0
	v_cndmask_b32_e32 v8, v1, v8, vcc
.LBB0_6:                                ;   in Loop: Header=BB0_2 Depth=1
	s_or_b64 exec, exec, s[2:3]
	v_mad_u64_u32 v[10:11], s[2:3], v8, s18, 0
	s_load_dwordx2 s[2:3], s[12:13], 0x0
	v_mul_lo_u32 v1, v9, s18
	v_mul_lo_u32 v5, v8, s19
	v_add3_u32 v1, v11, v5, v1
	v_sub_co_u32_e32 v5, vcc, v6, v10
	s_add_u32 s14, s14, 1
	s_nop 0
	v_subb_co_u32_e32 v1, vcc, v7, v1, vcc
	s_addc_u32 s15, s15, 0
	s_waitcnt lgkmcnt(0)
	v_mul_lo_u32 v1, s2, v1
	v_mul_lo_u32 v6, s3, v5
	v_mad_u64_u32 v[2:3], s[2:3], s2, v5, v[2:3]
	s_add_u32 s12, s12, 8
	v_add3_u32 v3, v6, v3, v1
	s_addc_u32 s13, s13, 0
	v_mov_b64_e32 v[6:7], s[6:7]
	s_add_u32 s16, s16, 8
	v_cmp_ge_u64_e32 vcc, s[14:15], v[6:7]
	s_addc_u32 s17, s17, 0
	s_cbranch_vccnz .LBB0_9
; %bb.7:                                ;   in Loop: Header=BB0_2 Depth=1
	v_mov_b64_e32 v[6:7], v[8:9]
	s_branch .LBB0_2
.LBB0_8:
	v_mov_b64_e32 v[8:9], v[6:7]
.LBB0_9:
	s_lshl_b64 s[2:3], s[6:7], 3
	s_add_u32 s2, s10, s2
	s_addc_u32 s3, s11, s3
	s_load_dwordx2 s[6:7], s[2:3], 0x0
	s_load_dwordx2 s[10:11], s[0:1], 0x20
	s_mov_b32 s2, 0x4ec4ec5
                                        ; implicit-def: $vgpr54
                                        ; implicit-def: $vgpr30
                                        ; implicit-def: $vgpr32
                                        ; implicit-def: $vgpr36
                                        ; implicit-def: $vgpr34
                                        ; implicit-def: $vgpr38
                                        ; implicit-def: $vgpr40
                                        ; implicit-def: $vgpr42
                                        ; implicit-def: $vgpr44
                                        ; implicit-def: $vgpr46
                                        ; implicit-def: $vgpr50
                                        ; implicit-def: $vgpr48
                                        ; implicit-def: $vgpr52
	s_waitcnt lgkmcnt(0)
	v_mul_lo_u32 v1, s6, v9
	v_mul_lo_u32 v4, s7, v8
	v_mad_u64_u32 v[2:3], s[0:1], s6, v8, v[2:3]
	v_add3_u32 v3, v4, v3, v1
	v_mul_hi_u32 v1, v0, s2
	v_mul_u32_u24_e32 v1, 52, v1
	v_mov_b64_e32 v[4:5], 0
	v_cmp_gt_u64_e64 s[0:1], s[10:11], v[8:9]
	v_sub_u32_e32 v24, v0, v1
	v_lshl_add_u64 v[26:27], v[2:3], 3, s[8:9]
	v_mov_b64_e32 v[6:7], v[4:5]
	v_mov_b64_e32 v[2:3], v[4:5]
	;; [unrolled: 1-line block ×12, first 2 shown]
	s_and_saveexec_b64 s[2:3], s[0:1]
	s_cbranch_execz .LBB0_11
; %bb.10:
	v_mov_b32_e32 v25, 0
	v_lshl_add_u64 v[56:57], v[24:25], 3, v[26:27]
	v_add_co_u32_e32 v58, vcc, 0x1000, v56
	s_movk_i32 s6, 0x2000
	s_nop 0
	v_addc_co_u32_e32 v59, vcc, 0, v57, vcc
	v_or_b32_e32 v8, 0x340, v24
	v_mov_b32_e32 v9, v25
	v_add_co_u32_e32 v60, vcc, s6, v56
	v_lshl_add_u64 v[14:15], v[8:9], 3, v[26:27]
	s_nop 0
	v_addc_co_u32_e32 v61, vcc, 0, v57, vcc
	global_load_dwordx2 v[30:31], v[58:59], off offset:1728
	global_load_dwordx2 v[32:33], v[58:59], off offset:2144
	global_load_dwordx2 v[4:5], v[56:57], off
	global_load_dwordx2 v[6:7], v[56:57], off offset:416
	global_load_dwordx2 v[2:3], v[56:57], off offset:832
	;; [unrolled: 1-line block ×5, first 2 shown]
	global_load_dwordx2 v[52:53], v[14:15], off
	global_load_dwordx2 v[34:35], v[58:59], off offset:3808
	global_load_dwordx2 v[18:19], v[56:57], off offset:1664
	;; [unrolled: 1-line block ×17, first 2 shown]
.LBB0_11:
	s_or_b64 exec, exec, s[2:3]
	s_waitcnt vmcnt(3)
	v_sub_f32_e32 v59, v5, v55
	v_sub_f32_e32 v31, v7, v31
	;; [unrolled: 1-line block ×11, first 2 shown]
	s_waitcnt vmcnt(1)
	v_sub_f32_e32 v91, v15, v51
	v_sub_f32_e32 v57, v4, v54
	v_fma_f32 v58, v5, 2.0, -v59
	v_sub_f32_e32 v5, v6, v30
	v_fma_f32 v30, v7, 2.0, -v31
	;; [unrolled: 2-line block ×12, first 2 shown]
	s_waitcnt vmcnt(0)
	v_sub_f32_e32 v15, v16, v46
	v_sub_f32_e32 v93, v17, v47
	v_add_u32_e32 v68, 52, v24
	v_fma_f32 v56, v4, 2.0, -v57
	v_fma_f32 v4, v6, 2.0, -v5
	;; [unrolled: 1-line block ×14, first 2 shown]
	v_lshl_add_u32 v16, v24, 3, 0
	v_lshl_add_u32 v17, v68, 3, 0
	v_add_u32_e32 v71, 0xd0, v24
	ds_write_b64 v17, v[4:5]
	ds_write2_b64 v16, v[56:57], v[6:7] offset1:104
	v_lshl_add_u32 v4, v71, 3, 0
	v_add_u32_e32 v70, 0x104, v24
	v_add_u32_e32 v25, 0x138, v24
	;; [unrolled: 1-line block ×3, first 2 shown]
	v_lshl_add_u32 v66, v24, 2, 0
	ds_write_b64 v4, v[0:1]
	v_lshl_add_u32 v0, v70, 3, 0
	v_lshl_add_u32 v1, v25, 3, 0
	ds_write2_b64 v5, v[2:3], v[10:11] offset0:28 offset1:236
	v_add_u32_e32 v2, 0x800, v16
	v_add_u32_e32 v3, 0x1000, v16
	;; [unrolled: 1-line block ×9, first 2 shown]
	v_and_b32_e32 v72, 1, v24
	ds_write_b64 v0, v[18:19]
	ds_write_b64 v1, v[12:13]
	ds_write2_b64 v2, v[8:9], v[28:29] offset0:160 offset1:212
	ds_write2_b64 v3, v[22:23], v[20:21] offset0:8 offset1:60
	ds_write_b64 v16, v[14:15] offset:4992
	s_waitcnt lgkmcnt(0)
	; wave barrier
	s_waitcnt lgkmcnt(0)
	ds_read2_b32 v[28:29], v66 offset1:52
	ds_read2_b32 v[54:55], v66 offset0:104 offset1:156
	ds_read2_b32 v[52:53], v62 offset0:80 offset1:132
	;; [unrolled: 1-line block ×12, first 2 shown]
	s_waitcnt lgkmcnt(0)
	; wave barrier
	s_waitcnt lgkmcnt(0)
	ds_write_b64 v17, v[30:31]
	ds_write2_b64 v16, v[58:59], v[60:61] offset1:104
	ds_write_b64 v4, v[76:77]
	ds_write_b64 v0, v[78:79]
	;; [unrolled: 1-line block ×3, first 2 shown]
	ds_write2_b64 v5, v[74:75], v[82:83] offset0:28 offset1:236
	ds_write2_b64 v2, v[84:85], v[86:87] offset0:160 offset1:212
	;; [unrolled: 1-line block ×3, first 2 shown]
	ds_write_b64 v16, v[92:93] offset:4992
	v_mul_u32_u24_e32 v0, 12, v72
	v_lshlrev_b32_e32 v30, 3, v0
	s_waitcnt lgkmcnt(0)
	; wave barrier
	s_waitcnt lgkmcnt(0)
	global_load_dwordx4 v[20:23], v30, s[4:5]
	global_load_dwordx4 v[8:11], v30, s[4:5] offset:16
	global_load_dwordx4 v[4:7], v30, s[4:5] offset:32
	;; [unrolled: 1-line block ×5, first 2 shown]
	ds_read2_b32 v[30:31], v66 offset1:52
	ds_read2_b32 v[80:81], v66 offset0:104 offset1:156
	ds_read2_b32 v[82:83], v62 offset0:80 offset1:132
	;; [unrolled: 1-line block ×12, first 2 shown]
	s_mov_b32 s6, 0x3f116cb1
	s_mov_b32 s8, 0xbf788fa5
	;; [unrolled: 1-line block ×6, first 2 shown]
	s_waitcnt lgkmcnt(0)
	; wave barrier
	s_waitcnt lgkmcnt(0)
	v_cmp_gt_u32_e64 s[2:3], 26, v24
	s_movk_i32 s11, 0x4f
	s_mov_b32 s24, 0xbf52af12
	s_mov_b32 s25, 0xbeedf032
	;; [unrolled: 1-line block ×13, first 2 shown]
	v_cmp_lt_u32_e32 vcc, 25, v24
	s_waitcnt vmcnt(5)
	v_mul_f32_e32 v98, v80, v21
	s_waitcnt vmcnt(4)
	v_mul_f32_e32 v79, v84, v9
	v_fmac_f32_e32 v98, v54, v20
	v_mul_f32_e32 v54, v54, v21
	v_fmac_f32_e32 v79, v50, v8
	v_mul_f32_e32 v50, v50, v9
	v_fma_f32 v99, v80, v20, -v54
	v_fma_f32 v80, v84, v8, -v50
	s_waitcnt vmcnt(1)
	v_mul_f32_e32 v84, v60, v19
	v_fmac_f32_e32 v84, v36, v18
	v_mul_f32_e32 v36, v36, v19
	v_fma_f32 v36, v60, v18, -v36
	s_waitcnt vmcnt(0)
	v_mul_f32_e32 v60, v58, v13
	v_mul_f32_e32 v54, v88, v5
	v_fmac_f32_e32 v60, v34, v12
	v_mul_f32_e32 v34, v34, v13
	v_mul_f32_e32 v76, v86, v11
	v_fmac_f32_e32 v54, v46, v4
	v_mul_f32_e32 v46, v46, v5
	v_fma_f32 v34, v58, v12, -v34
	v_mul_f32_e32 v58, v56, v15
	v_mul_f32_e32 v100, v82, v23
	v_fmac_f32_e32 v76, v48, v10
	v_mul_f32_e32 v48, v48, v11
	v_fma_f32 v74, v88, v4, -v46
	v_fmac_f32_e32 v58, v32, v14
	v_mul_f32_e32 v32, v32, v15
	v_mul_f32_e32 v46, v81, v21
	;; [unrolled: 1-line block ×3, first 2 shown]
	v_fmac_f32_e32 v100, v52, v22
	v_mul_f32_e32 v52, v52, v23
	v_fma_f32 v77, v86, v10, -v48
	v_fma_f32 v56, v56, v14, -v32
	v_fmac_f32_e32 v46, v55, v20
	v_fma_f32 v48, v81, v20, -v21
	v_mul_f32_e32 v32, v83, v23
	v_mul_f32_e32 v20, v53, v23
	;; [unrolled: 1-line block ×4, first 2 shown]
	v_fma_f32 v82, v82, v22, -v52
	v_fmac_f32_e32 v32, v53, v22
	v_fma_f32 v23, v83, v22, -v20
	v_fmac_f32_e32 v21, v51, v8
	v_fma_f32 v22, v85, v8, -v9
	v_mul_f32_e32 v20, v87, v11
	v_mul_f32_e32 v8, v49, v11
	;; [unrolled: 1-line block ×3, first 2 shown]
	v_fmac_f32_e32 v20, v49, v10
	v_fma_f32 v10, v87, v10, -v8
	v_mul_f32_e32 v8, v89, v5
	v_mul_f32_e32 v5, v47, v5
	v_fmac_f32_e32 v50, v44, v6
	v_mul_f32_e32 v44, v44, v7
	v_mul_f32_e32 v52, v92, v1
	v_fmac_f32_e32 v8, v47, v4
	v_fma_f32 v9, v89, v4, -v5
	v_mul_f32_e32 v4, v91, v7
	v_mul_f32_e32 v5, v45, v7
	v_fma_f32 v44, v90, v6, -v44
	v_fmac_f32_e32 v52, v42, v0
	v_mul_f32_e32 v42, v42, v1
	v_mul_f32_e32 v75, v94, v3
	v_fmac_f32_e32 v4, v45, v6
	v_fma_f32 v5, v91, v6, -v5
	v_mul_f32_e32 v6, v93, v1
	v_mul_f32_e32 v1, v43, v1
	v_fma_f32 v42, v92, v0, -v42
	;; [unrolled: 8-line block ×3, first 2 shown]
	v_fmac_f32_e32 v78, v38, v16
	v_mul_f32_e32 v38, v38, v17
	v_fmac_f32_e32 v11, v41, v2
	v_fma_f32 v2, v95, v2, -v0
	v_mul_f32_e32 v3, v97, v17
	v_mul_f32_e32 v0, v39, v17
	v_fma_f32 v38, v96, v16, -v38
	v_fmac_f32_e32 v3, v39, v16
	v_fma_f32 v16, v97, v16, -v0
	v_mul_f32_e32 v17, v61, v19
	v_mul_f32_e32 v0, v37, v19
	v_fmac_f32_e32 v17, v37, v18
	v_fma_f32 v18, v61, v18, -v0
	v_mul_f32_e32 v19, v59, v13
	v_mul_f32_e32 v0, v35, v13
	v_fmac_f32_e32 v19, v35, v12
	v_fma_f32 v12, v59, v12, -v0
	v_mul_f32_e32 v0, v33, v15
	v_fma_f32 v47, v57, v14, -v0
	v_add_f32_e32 v0, v28, v98
	v_add_f32_e32 v1, v30, v99
	;; [unrolled: 1-line block ×18, first 2 shown]
	v_mul_f32_e32 v45, v57, v15
	v_add_f32_e32 v0, v0, v84
	v_add_f32_e32 v1, v1, v36
	v_fmac_f32_e32 v45, v33, v14
	v_add_f32_e32 v0, v0, v60
	v_add_f32_e32 v13, v1, v34
	v_sub_f32_e32 v33, v99, v56
	v_add_f32_e32 v1, v0, v58
	v_add_f32_e32 v0, v13, v56
	;; [unrolled: 1-line block ×4, first 2 shown]
	v_mul_f32_e32 v35, 0xbeedf032, v33
	v_mul_f32_e32 v43, 0xbf52af12, v33
	;; [unrolled: 1-line block ×6, first 2 shown]
	v_sub_f32_e32 v15, v98, v58
	v_fmamk_f32 v37, v13, 0x3f62ad3f, v35
	v_mul_f32_e32 v39, 0x3f62ad3f, v14
	v_fma_f32 v35, v13, s7, -v35
	v_fmamk_f32 v49, v13, 0x3f116cb1, v43
	v_mul_f32_e32 v51, 0x3f116cb1, v14
	v_fma_f32 v43, v13, s6, -v43
	;; [unrolled: 3-line block ×6, first 2 shown]
	v_sub_f32_e32 v33, v82, v34
	v_add_f32_e32 v37, v28, v37
	v_fmamk_f32 v41, v15, 0x3eedf032, v39
	v_add_f32_e32 v35, v28, v35
	v_fmac_f32_e32 v39, 0xbeedf032, v15
	v_add_f32_e32 v49, v28, v49
	v_fmamk_f32 v53, v15, 0x3f52af12, v51
	v_add_f32_e32 v43, v28, v43
	v_fmac_f32_e32 v51, 0xbf52af12, v15
	;; [unrolled: 4-line block ×6, first 2 shown]
	v_add_f32_e32 v15, v100, v60
	v_add_f32_e32 v28, v82, v34
	v_mul_f32_e32 v34, 0xbf52af12, v33
	v_add_f32_e32 v41, v30, v41
	v_add_f32_e32 v39, v30, v39
	v_add_f32_e32 v53, v30, v53
	v_add_f32_e32 v51, v30, v51
	v_add_f32_e32 v58, v30, v58
	v_add_f32_e32 v57, v30, v57
	v_add_f32_e32 v83, v30, v83
	v_add_f32_e32 v81, v30, v81
	v_add_f32_e32 v88, v30, v88
	v_add_f32_e32 v87, v30, v87
	v_add_f32_e32 v90, v30, v90
	v_add_f32_e32 v14, v30, v14
	v_sub_f32_e32 v30, v100, v60
	v_fmamk_f32 v60, v15, 0x3f116cb1, v34
	v_add_f32_e32 v37, v60, v37
	v_mul_f32_e32 v60, 0x3f116cb1, v28
	v_fmamk_f32 v82, v30, 0x3f52af12, v60
	v_fma_f32 v34, v15, s6, -v34
	v_fmac_f32_e32 v60, 0xbf52af12, v30
	v_add_f32_e32 v34, v34, v35
	v_add_f32_e32 v35, v60, v39
	v_mul_f32_e32 v39, 0xbf6f5d39, v33
	v_fmamk_f32 v60, v15, 0xbeb58ec6, v39
	v_add_f32_e32 v49, v60, v49
	v_mul_f32_e32 v60, 0xbeb58ec6, v28
	v_add_f32_e32 v41, v82, v41
	v_fmamk_f32 v82, v30, 0x3f6f5d39, v60
	v_fma_f32 v39, v15, s10, -v39
	v_fmac_f32_e32 v60, 0xbf6f5d39, v30
	v_add_f32_e32 v39, v39, v43
	v_add_f32_e32 v43, v60, v51
	v_mul_f32_e32 v51, 0xbe750f2a, v33
	v_fmamk_f32 v60, v15, 0xbf788fa5, v51
	v_add_f32_e32 v56, v60, v56
	v_mul_f32_e32 v60, 0xbf788fa5, v28
	v_add_f32_e32 v53, v82, v53
	;; [unrolled: 10-line block ×3, first 2 shown]
	v_fmamk_f32 v82, v30, 0xbf29c268, v61
	v_fma_f32 v57, v15, s12, -v57
	v_fmac_f32_e32 v61, 0x3f29c268, v30
	v_add_f32_e32 v57, v57, v59
	v_add_f32_e32 v59, v61, v81
	v_mul_f32_e32 v61, 0x3f7e222b, v33
	v_add_f32_e32 v82, v82, v83
	v_fmamk_f32 v81, v15, 0x3df6dbef, v61
	v_mul_f32_e32 v83, 0x3df6dbef, v28
	v_add_f32_e32 v81, v81, v86
	v_fmamk_f32 v86, v30, 0xbf7e222b, v83
	v_fma_f32 v61, v15, s9, -v61
	v_fmac_f32_e32 v83, 0x3f7e222b, v30
	v_mul_f32_e32 v33, 0x3eedf032, v33
	v_mul_f32_e32 v28, 0x3f62ad3f, v28
	v_add_f32_e32 v61, v61, v85
	v_add_f32_e32 v83, v83, v87
	v_fmamk_f32 v85, v15, 0x3f62ad3f, v33
	v_fmamk_f32 v87, v30, 0xbeedf032, v28
	v_fma_f32 v15, v15, s7, -v33
	v_fmac_f32_e32 v28, 0x3eedf032, v30
	v_sub_f32_e32 v33, v80, v36
	v_add_f32_e32 v13, v15, v13
	v_add_f32_e32 v14, v28, v14
	;; [unrolled: 1-line block ×4, first 2 shown]
	v_mul_f32_e32 v36, 0xbf7e222b, v33
	v_sub_f32_e32 v30, v79, v84
	v_fmamk_f32 v79, v15, 0x3df6dbef, v36
	v_add_f32_e32 v37, v79, v37
	v_mul_f32_e32 v79, 0x3df6dbef, v28
	v_fma_f32 v36, v15, s9, -v36
	v_fmamk_f32 v80, v30, 0x3f7e222b, v79
	v_add_f32_e32 v34, v36, v34
	v_fmac_f32_e32 v79, 0xbf7e222b, v30
	v_mul_f32_e32 v36, 0xbe750f2a, v33
	v_add_f32_e32 v35, v79, v35
	v_fmamk_f32 v79, v15, 0xbf788fa5, v36
	v_add_f32_e32 v49, v79, v49
	v_mul_f32_e32 v79, 0xbf788fa5, v28
	v_add_f32_e32 v41, v80, v41
	v_fmamk_f32 v80, v30, 0x3e750f2a, v79
	v_fma_f32 v36, v15, s8, -v36
	v_fmac_f32_e32 v79, 0xbe750f2a, v30
	v_add_f32_e32 v36, v36, v39
	v_add_f32_e32 v39, v79, v43
	v_mul_f32_e32 v43, 0x3f6f5d39, v33
	v_fmamk_f32 v79, v15, 0xbeb58ec6, v43
	v_add_f32_e32 v56, v79, v56
	v_mul_f32_e32 v79, 0xbeb58ec6, v28
	v_add_f32_e32 v53, v80, v53
	v_fmamk_f32 v80, v30, 0xbf6f5d39, v79
	v_fma_f32 v43, v15, s10, -v43
	v_fmac_f32_e32 v79, 0x3f6f5d39, v30
	v_add_f32_e32 v43, v43, v51
	v_add_f32_e32 v51, v79, v55
	v_mul_f32_e32 v55, 0x3eedf032, v33
	;; [unrolled: 10-line block ×3, first 2 shown]
	v_fmamk_f32 v79, v15, 0x3f116cb1, v59
	v_add_f32_e32 v79, v79, v81
	v_mul_f32_e32 v81, 0x3f116cb1, v28
	v_add_f32_e32 v80, v80, v82
	v_fmamk_f32 v82, v30, 0x3f52af12, v81
	v_fma_f32 v59, v15, s6, -v59
	v_fmac_f32_e32 v81, 0xbf52af12, v30
	v_mul_f32_e32 v33, 0xbf29c268, v33
	v_mul_f32_e32 v28, 0xbf3f9e67, v28
	v_add_f32_e32 v59, v59, v61
	v_add_f32_e32 v61, v81, v83
	v_fmamk_f32 v81, v15, 0xbf3f9e67, v33
	v_fmamk_f32 v83, v30, 0x3f29c268, v28
	v_fma_f32 v15, v15, s12, -v33
	v_fmac_f32_e32 v28, 0xbf29c268, v30
	v_sub_f32_e32 v33, v77, v38
	v_add_f32_e32 v13, v15, v13
	v_add_f32_e32 v14, v28, v14
	;; [unrolled: 1-line block ×4, first 2 shown]
	v_mul_f32_e32 v38, 0xbf6f5d39, v33
	v_sub_f32_e32 v30, v76, v78
	v_fmamk_f32 v76, v15, 0xbeb58ec6, v38
	v_add_f32_e32 v37, v76, v37
	v_mul_f32_e32 v76, 0xbeb58ec6, v28
	v_fma_f32 v38, v15, s10, -v38
	v_fmamk_f32 v77, v30, 0x3f6f5d39, v76
	v_add_f32_e32 v34, v38, v34
	v_fmac_f32_e32 v76, 0xbf6f5d39, v30
	v_mul_f32_e32 v38, 0x3f29c268, v33
	v_add_f32_e32 v35, v76, v35
	v_fmamk_f32 v76, v15, 0xbf3f9e67, v38
	v_add_f32_e32 v49, v76, v49
	v_mul_f32_e32 v76, 0xbf3f9e67, v28
	v_add_f32_e32 v41, v77, v41
	v_fmamk_f32 v77, v30, 0xbf29c268, v76
	v_fma_f32 v38, v15, s12, -v38
	v_fmac_f32_e32 v76, 0x3f29c268, v30
	v_add_f32_e32 v36, v38, v36
	v_add_f32_e32 v38, v76, v39
	v_mul_f32_e32 v39, 0x3eedf032, v33
	v_fmamk_f32 v76, v15, 0x3f62ad3f, v39
	v_add_f32_e32 v56, v76, v56
	v_mul_f32_e32 v76, 0x3f62ad3f, v28
	v_add_f32_e32 v53, v77, v53
	v_fmamk_f32 v77, v30, 0xbeedf032, v76
	v_fma_f32 v39, v15, s7, -v39
	v_fmac_f32_e32 v76, 0x3eedf032, v30
	v_add_f32_e32 v39, v39, v43
	v_add_f32_e32 v43, v76, v51
	v_mul_f32_e32 v51, 0xbf7e222b, v33
	v_fmamk_f32 v76, v15, 0x3df6dbef, v51
	v_add_f32_e32 v60, v76, v60
	v_mul_f32_e32 v76, 0x3df6dbef, v28
	v_add_f32_e32 v58, v77, v58
	v_fmamk_f32 v77, v30, 0x3f7e222b, v76
	v_fma_f32 v51, v15, s9, -v51
	v_fmac_f32_e32 v76, 0xbf7e222b, v30
	v_add_f32_e32 v51, v51, v55
	v_add_f32_e32 v55, v76, v57
	v_mul_f32_e32 v57, 0x3e750f2a, v33
	v_fmamk_f32 v76, v15, 0xbf788fa5, v57
	v_mul_f32_e32 v78, 0xbf788fa5, v28
	v_add_f32_e32 v76, v76, v79
	v_fmamk_f32 v79, v30, 0xbe750f2a, v78
	v_fma_f32 v57, v15, s8, -v57
	v_fmac_f32_e32 v78, 0x3e750f2a, v30
	v_mul_f32_e32 v33, 0x3f52af12, v33
	v_mul_f32_e32 v28, 0x3f116cb1, v28
	v_add_f32_e32 v57, v57, v59
	v_add_f32_e32 v59, v78, v61
	v_fmamk_f32 v61, v15, 0x3f116cb1, v33
	v_fmamk_f32 v78, v30, 0xbf52af12, v28
	v_fma_f32 v15, v15, s6, -v33
	v_fmac_f32_e32 v28, 0x3f52af12, v30
	v_sub_f32_e32 v33, v74, v40
	v_add_f32_e32 v13, v15, v13
	v_add_f32_e32 v14, v28, v14
	;; [unrolled: 1-line block ×4, first 2 shown]
	v_mul_f32_e32 v40, 0xbf29c268, v33
	v_sub_f32_e32 v30, v54, v75
	v_fmamk_f32 v54, v15, 0xbf3f9e67, v40
	v_add_f32_e32 v37, v54, v37
	v_mul_f32_e32 v54, 0xbf3f9e67, v28
	v_fma_f32 v40, v15, s12, -v40
	v_fmamk_f32 v74, v30, 0x3f29c268, v54
	v_add_f32_e32 v34, v40, v34
	v_fmac_f32_e32 v54, 0xbf29c268, v30
	v_mul_f32_e32 v40, 0x3f7e222b, v33
	v_add_f32_e32 v35, v54, v35
	v_fmamk_f32 v54, v15, 0x3df6dbef, v40
	v_add_f32_e32 v49, v54, v49
	v_mul_f32_e32 v54, 0x3df6dbef, v28
	v_fma_f32 v40, v15, s9, -v40
	v_add_f32_e32 v41, v74, v41
	v_fmamk_f32 v74, v30, 0xbf7e222b, v54
	v_add_f32_e32 v36, v40, v36
	v_fmac_f32_e32 v54, 0x3f7e222b, v30
	v_mul_f32_e32 v40, 0xbf52af12, v33
	v_add_f32_e32 v38, v54, v38
	v_fmamk_f32 v54, v15, 0x3f116cb1, v40
	v_add_f32_e32 v54, v54, v56
	v_mul_f32_e32 v56, 0x3f116cb1, v28
	v_add_f32_e32 v53, v74, v53
	v_fmamk_f32 v74, v30, 0x3f52af12, v56
	v_fma_f32 v40, v15, s6, -v40
	v_fmac_f32_e32 v56, 0xbf52af12, v30
	v_add_f32_e32 v39, v40, v39
	v_add_f32_e32 v40, v56, v43
	v_mul_f32_e32 v43, 0x3e750f2a, v33
	v_fmamk_f32 v56, v15, 0xbf788fa5, v43
	v_add_f32_e32 v60, v56, v60
	v_mul_f32_e32 v56, 0xbf788fa5, v28
	v_add_f32_e32 v58, v74, v58
	v_fmamk_f32 v74, v30, 0xbe750f2a, v56
	v_fma_f32 v43, v15, s8, -v43
	v_fmac_f32_e32 v56, 0x3e750f2a, v30
	v_add_f32_e32 v43, v43, v51
	v_add_f32_e32 v51, v56, v55
	v_mul_f32_e32 v55, 0x3eedf032, v33
	v_fmamk_f32 v56, v15, 0x3f62ad3f, v55
	v_add_f32_e32 v86, v86, v88
	v_add_f32_e32 v85, v85, v89
	;; [unrolled: 1-line block ×4, first 2 shown]
	v_mul_f32_e32 v56, 0x3f62ad3f, v28
	v_add_f32_e32 v82, v82, v86
	v_add_f32_e32 v81, v81, v85
	;; [unrolled: 1-line block ×4, first 2 shown]
	v_fmamk_f32 v76, v30, 0xbeedf032, v56
	v_fmac_f32_e32 v56, 0x3eedf032, v30
	v_mul_f32_e32 v33, 0xbf6f5d39, v33
	v_add_f32_e32 v79, v79, v82
	v_add_f32_e32 v61, v61, v81
	;; [unrolled: 1-line block ×4, first 2 shown]
	v_fma_f32 v55, v15, s7, -v55
	v_add_f32_e32 v77, v56, v59
	v_fmamk_f32 v56, v15, 0xbeb58ec6, v33
	v_mul_f32_e32 v28, 0xbeb58ec6, v28
	v_fma_f32 v15, v15, s10, -v33
	v_add_f32_e32 v83, v44, v42
	v_sub_f32_e32 v42, v44, v42
	v_add_f32_e32 v76, v76, v79
	v_add_f32_e32 v79, v56, v61
	v_fmamk_f32 v56, v30, 0x3f6f5d39, v28
	v_add_f32_e32 v80, v15, v13
	v_fmac_f32_e32 v28, 0xbf6f5d39, v30
	v_add_f32_e32 v82, v50, v52
	v_mul_f32_e32 v13, 0xbe750f2a, v42
	v_add_f32_e32 v81, v28, v14
	v_sub_f32_e32 v50, v50, v52
	v_fmamk_f32 v14, v82, 0xbf788fa5, v13
	v_mul_f32_e32 v15, 0xbf788fa5, v83
	v_add_f32_e32 v33, v14, v37
	v_fmamk_f32 v14, v50, 0x3e750f2a, v15
	v_fma_f32 v13, v82, s8, -v13
	v_fmac_f32_e32 v15, 0xbe750f2a, v50
	v_mul_f32_e32 v28, 0x3eedf032, v42
	v_add_f32_e32 v30, v13, v34
	v_add_f32_e32 v13, v15, v35
	v_fmamk_f32 v15, v82, 0x3f62ad3f, v28
	v_mul_f32_e32 v37, 0x3f62ad3f, v83
	v_add_f32_e32 v34, v15, v49
	v_fmamk_f32 v15, v50, 0xbeedf032, v37
	v_fma_f32 v28, v82, s7, -v28
	v_fmac_f32_e32 v37, 0x3eedf032, v50
	v_add_f32_e32 v35, v28, v36
	v_add_f32_e32 v28, v37, v38
	v_mul_f32_e32 v37, 0xbf29c268, v42
	v_fmamk_f32 v36, v82, 0xbf3f9e67, v37
	v_mul_f32_e32 v38, 0xbf3f9e67, v83
	v_fma_f32 v37, v82, s12, -v37
	v_add_f32_e32 v14, v14, v41
	v_fmamk_f32 v41, v50, 0x3f29c268, v38
	v_add_f32_e32 v37, v37, v39
	v_fmac_f32_e32 v38, 0xbf29c268, v50
	v_mul_f32_e32 v39, 0x3f52af12, v42
	v_add_f32_e32 v55, v55, v57
	v_add_f32_e32 v57, v38, v40
	v_fmamk_f32 v38, v82, 0x3f116cb1, v39
	v_fma_f32 v39, v82, s6, -v39
	v_add_f32_e32 v39, v39, v43
	v_mul_f32_e32 v43, 0xbeb58ec6, v83
	v_mul_f32_e32 v40, 0x3f116cb1, v83
	v_fmamk_f32 v44, v50, 0x3f6f5d39, v43
	v_add_f32_e32 v78, v56, v78
	v_add_f32_e32 v56, v41, v58
	;; [unrolled: 1-line block ×3, first 2 shown]
	v_fmamk_f32 v41, v50, 0xbf52af12, v40
	v_add_f32_e32 v60, v44, v76
	v_mul_f32_e32 v44, 0x3df6dbef, v83
	v_add_f32_e32 v58, v41, v74
	v_fmac_f32_e32 v40, 0x3f52af12, v50
	v_mul_f32_e32 v41, 0xbf6f5d39, v42
	v_fmamk_f32 v49, v50, 0xbf7e222b, v44
	v_add_f32_e32 v59, v40, v51
	v_fmamk_f32 v40, v82, 0xbeb58ec6, v41
	v_add_f32_e32 v74, v49, v78
	v_fmac_f32_e32 v44, 0x3f7e222b, v50
	v_add_f32_e32 v49, v31, v48
	v_add_f32_e32 v40, v40, v75
	;; [unrolled: 1-line block ×24, first 2 shown]
	v_sub_f32_e32 v86, v48, v47
	v_fmac_f32_e32 v43, 0xbf6f5d39, v50
	v_add_f32_e32 v44, v44, v19
	v_add_f32_e32 v76, v49, v47
	;; [unrolled: 1-line block ×3, first 2 shown]
	v_sub_f32_e32 v89, v46, v45
	v_mul_f32_e32 v47, 0xbeedf032, v86
	v_mul_f32_e32 v49, 0x3f62ad3f, v87
	v_add_f32_e32 v15, v15, v53
	v_fma_f32 v41, v82, s10, -v41
	v_add_f32_e32 v61, v43, v77
	v_mul_f32_e32 v43, 0x3f7e222b, v42
	v_add_f32_e32 v44, v44, v45
	v_fmamk_f32 v45, v88, 0x3f62ad3f, v47
	v_fmamk_f32 v46, v89, 0x3eedf032, v49
	v_fma_f32 v47, v88, s7, -v47
	v_fmac_f32_e32 v49, 0xbeedf032, v89
	v_mul_f32_e32 v51, 0xbf52af12, v86
	v_mul_f32_e32 v53, 0x3f116cb1, v87
	v_add_f32_e32 v41, v41, v55
	v_fmamk_f32 v42, v82, 0x3df6dbef, v43
	v_fma_f32 v43, v82, s9, -v43
	v_add_f32_e32 v48, v29, v47
	v_add_f32_e32 v47, v31, v49
	v_fmamk_f32 v49, v88, 0x3f116cb1, v51
	v_fmamk_f32 v50, v89, 0x3f52af12, v53
	v_fma_f32 v51, v88, s6, -v51
	v_fmac_f32_e32 v53, 0xbf52af12, v89
	v_mul_f32_e32 v55, 0xbf7e222b, v86
	v_mul_f32_e32 v78, 0x3df6dbef, v87
	v_add_f32_e32 v36, v36, v54
	v_add_f32_e32 v43, v43, v80
	;; [unrolled: 1-line block ×4, first 2 shown]
	v_fmamk_f32 v53, v88, 0x3df6dbef, v55
	v_fmamk_f32 v54, v89, 0x3f7e222b, v78
	v_fma_f32 v55, v88, s9, -v55
	v_fmac_f32_e32 v78, 0xbf7e222b, v89
	v_mul_f32_e32 v80, 0xbf6f5d39, v86
	v_mul_f32_e32 v82, 0xbeb58ec6, v87
	v_add_f32_e32 v42, v42, v79
	v_add_f32_e32 v77, v29, v55
	;; [unrolled: 1-line block ×3, first 2 shown]
	v_fmamk_f32 v78, v88, 0xbeb58ec6, v80
	v_fmamk_f32 v79, v89, 0x3f6f5d39, v82
	v_fma_f32 v80, v88, s10, -v80
	v_fmac_f32_e32 v82, 0xbf6f5d39, v89
	v_mul_f32_e32 v84, 0xbf29c268, v86
	v_mul_f32_e32 v90, 0xbf3f9e67, v87
	v_add_f32_e32 v81, v29, v80
	v_add_f32_e32 v80, v31, v82
	v_fmamk_f32 v82, v88, 0xbf3f9e67, v84
	v_fmamk_f32 v83, v89, 0x3f29c268, v90
	v_fma_f32 v84, v88, s12, -v84
	v_fmac_f32_e32 v90, 0xbf29c268, v89
	v_add_f32_e32 v85, v29, v84
	v_add_f32_e32 v84, v31, v90
	v_mul_f32_e32 v90, 0xbe750f2a, v86
	v_mul_f32_e32 v91, 0xbf788fa5, v87
	v_fmamk_f32 v86, v88, 0xbf788fa5, v90
	v_fmamk_f32 v87, v89, 0x3e750f2a, v91
	v_fma_f32 v88, v88, s8, -v90
	v_fmac_f32_e32 v91, 0xbe750f2a, v89
	v_add_f32_e32 v89, v23, v12
	v_sub_f32_e32 v12, v23, v12
	v_add_f32_e32 v45, v29, v45
	v_add_f32_e32 v49, v29, v49
	;; [unrolled: 1-line block ×8, first 2 shown]
	v_mul_f32_e32 v23, 0xbf52af12, v12
	v_sub_f32_e32 v19, v32, v19
	v_fmamk_f32 v32, v88, 0x3f116cb1, v23
	v_add_f32_e32 v32, v32, v45
	v_mul_f32_e32 v45, 0x3f116cb1, v89
	v_fmamk_f32 v90, v19, 0x3f52af12, v45
	v_fmac_f32_e32 v45, 0xbf52af12, v19
	v_fma_f32 v23, v88, s6, -v23
	v_add_f32_e32 v45, v45, v47
	v_mul_f32_e32 v47, 0xbf6f5d39, v12
	v_add_f32_e32 v23, v23, v48
	v_fmamk_f32 v48, v88, 0xbeb58ec6, v47
	v_add_f32_e32 v46, v31, v46
	v_add_f32_e32 v48, v48, v49
	v_mul_f32_e32 v49, 0xbeb58ec6, v89
	v_add_f32_e32 v46, v90, v46
	v_fmamk_f32 v90, v19, 0x3f6f5d39, v49
	v_fmac_f32_e32 v49, 0xbf6f5d39, v19
	v_fma_f32 v47, v88, s10, -v47
	v_add_f32_e32 v49, v49, v51
	v_mul_f32_e32 v51, 0xbe750f2a, v12
	v_add_f32_e32 v47, v47, v52
	v_fmamk_f32 v52, v88, 0xbf788fa5, v51
	v_add_f32_e32 v50, v31, v50
	v_add_f32_e32 v52, v52, v53
	v_mul_f32_e32 v53, 0xbf788fa5, v89
	v_add_f32_e32 v50, v90, v50
	;; [unrolled: 11-line block ×4, first 2 shown]
	v_fmamk_f32 v90, v19, 0xbf7e222b, v82
	v_fma_f32 v80, v88, s9, -v80
	v_fmac_f32_e32 v82, 0x3f7e222b, v19
	v_mul_f32_e32 v12, 0x3eedf032, v12
	v_add_f32_e32 v80, v80, v85
	v_add_f32_e32 v82, v82, v84
	v_fmamk_f32 v84, v88, 0x3f62ad3f, v12
	v_mul_f32_e32 v85, 0x3f62ad3f, v89
	v_add_f32_e32 v83, v31, v83
	v_add_f32_e32 v87, v31, v87
	;; [unrolled: 1-line block ×4, first 2 shown]
	v_fmamk_f32 v86, v19, 0xbeedf032, v85
	v_fmac_f32_e32 v85, 0x3eedf032, v19
	v_fma_f32 v12, v88, s7, -v12
	v_add_f32_e32 v19, v85, v31
	v_add_f32_e32 v31, v22, v18
	v_sub_f32_e32 v18, v22, v18
	v_add_f32_e32 v12, v12, v29
	v_add_f32_e32 v29, v21, v17
	v_sub_f32_e32 v17, v21, v17
	v_mul_f32_e32 v21, 0xbf7e222b, v18
	v_fmamk_f32 v22, v29, 0x3df6dbef, v21
	v_add_f32_e32 v22, v22, v32
	v_mul_f32_e32 v32, 0x3df6dbef, v31
	v_fmamk_f32 v85, v17, 0x3f7e222b, v32
	v_fma_f32 v21, v29, s9, -v21
	v_fmac_f32_e32 v32, 0xbf7e222b, v17
	v_add_f32_e32 v21, v21, v23
	v_add_f32_e32 v23, v32, v45
	v_mul_f32_e32 v32, 0xbe750f2a, v18
	v_fmamk_f32 v45, v29, 0xbf788fa5, v32
	v_add_f32_e32 v45, v45, v48
	v_mul_f32_e32 v48, 0xbf788fa5, v31
	v_add_f32_e32 v46, v85, v46
	v_fmamk_f32 v85, v17, 0x3e750f2a, v48
	v_fma_f32 v32, v29, s8, -v32
	v_fmac_f32_e32 v48, 0xbe750f2a, v17
	v_add_f32_e32 v32, v32, v47
	v_add_f32_e32 v47, v48, v49
	v_mul_f32_e32 v48, 0x3f6f5d39, v18
	v_fmamk_f32 v49, v29, 0xbeb58ec6, v48
	v_add_f32_e32 v49, v49, v52
	v_mul_f32_e32 v52, 0xbeb58ec6, v31
	v_add_f32_e32 v50, v85, v50
	;; [unrolled: 10-line block ×4, first 2 shown]
	v_fmamk_f32 v85, v17, 0x3f52af12, v81
	v_fma_f32 v77, v29, s6, -v77
	v_fmac_f32_e32 v81, 0xbf52af12, v17
	v_mul_f32_e32 v31, 0xbf3f9e67, v31
	v_add_f32_e32 v77, v77, v80
	v_add_f32_e32 v80, v81, v82
	v_mul_f32_e32 v18, 0xbf29c268, v18
	v_fmamk_f32 v82, v17, 0x3f29c268, v31
	v_fmac_f32_e32 v31, 0xbf29c268, v17
	v_fmamk_f32 v81, v29, 0xbf3f9e67, v18
	v_fma_f32 v18, v29, s12, -v18
	v_add_f32_e32 v17, v31, v19
	v_add_f32_e32 v19, v10, v16
	v_sub_f32_e32 v10, v10, v16
	v_add_f32_e32 v12, v18, v12
	v_add_f32_e32 v18, v20, v3
	v_mul_f32_e32 v16, 0xbf6f5d39, v10
	v_sub_f32_e32 v3, v20, v3
	v_fmamk_f32 v20, v18, 0xbeb58ec6, v16
	v_add_f32_e32 v20, v20, v22
	v_mul_f32_e32 v22, 0xbeb58ec6, v19
	v_fmamk_f32 v29, v3, 0x3f6f5d39, v22
	v_fma_f32 v16, v18, s10, -v16
	v_fmac_f32_e32 v22, 0xbf6f5d39, v3
	v_add_f32_e32 v16, v16, v21
	v_add_f32_e32 v21, v22, v23
	v_mul_f32_e32 v22, 0x3f29c268, v10
	v_fmamk_f32 v23, v18, 0xbf3f9e67, v22
	v_mul_f32_e32 v31, 0xbf3f9e67, v19
	v_fma_f32 v22, v18, s12, -v22
	v_add_f32_e32 v23, v23, v45
	v_fmamk_f32 v45, v3, 0xbf29c268, v31
	v_add_f32_e32 v22, v22, v32
	v_fmac_f32_e32 v31, 0x3f29c268, v3
	v_mul_f32_e32 v32, 0x3eedf032, v10
	v_add_f32_e32 v29, v29, v46
	v_add_f32_e32 v31, v31, v47
	v_fmamk_f32 v46, v18, 0x3f62ad3f, v32
	v_mul_f32_e32 v47, 0x3f62ad3f, v19
	v_fma_f32 v32, v18, s7, -v32
	v_add_f32_e32 v46, v46, v49
	v_fmamk_f32 v49, v3, 0xbeedf032, v47
	v_add_f32_e32 v32, v32, v48
	v_fmac_f32_e32 v47, 0x3eedf032, v3
	v_mul_f32_e32 v48, 0xbf7e222b, v10
	v_add_f32_e32 v45, v45, v50
	v_add_f32_e32 v47, v47, v51
	v_fmamk_f32 v50, v18, 0x3df6dbef, v48
	v_mul_f32_e32 v51, 0x3df6dbef, v19
	v_add_f32_e32 v50, v50, v53
	v_fmamk_f32 v53, v3, 0x3f7e222b, v51
	v_fma_f32 v48, v18, s9, -v48
	v_fmac_f32_e32 v51, 0xbf7e222b, v3
	v_add_f32_e32 v48, v48, v52
	v_add_f32_e32 v51, v51, v55
	v_mul_f32_e32 v52, 0x3e750f2a, v10
	v_mul_f32_e32 v55, 0xbf788fa5, v19
	;; [unrolled: 1-line block ×3, first 2 shown]
	v_add_f32_e32 v49, v49, v54
	v_add_f32_e32 v53, v53, v79
	v_fmamk_f32 v54, v18, 0xbf788fa5, v52
	v_fma_f32 v52, v18, s8, -v52
	v_mul_f32_e32 v10, 0x3f52af12, v10
	v_fmamk_f32 v79, v3, 0xbf52af12, v19
	v_fmac_f32_e32 v19, 0x3f52af12, v3
	v_add_f32_e32 v54, v54, v78
	v_fmamk_f32 v78, v3, 0xbe750f2a, v55
	v_add_f32_e32 v52, v52, v77
	v_fmac_f32_e32 v55, 0x3e750f2a, v3
	v_fmamk_f32 v77, v18, 0x3f116cb1, v10
	v_fma_f32 v10, v18, s6, -v10
	v_add_f32_e32 v3, v19, v17
	v_add_f32_e32 v17, v9, v2
	v_sub_f32_e32 v2, v9, v2
	v_add_f32_e32 v10, v10, v12
	v_add_f32_e32 v12, v8, v11
	v_sub_f32_e32 v8, v8, v11
	v_mul_f32_e32 v9, 0xbf29c268, v2
	v_mul_f32_e32 v18, 0xbf3f9e67, v17
	v_fmamk_f32 v11, v12, 0xbf3f9e67, v9
	v_fmamk_f32 v19, v8, 0x3f29c268, v18
	v_fma_f32 v9, v12, s12, -v9
	v_fmac_f32_e32 v18, 0xbf29c268, v8
	v_add_f32_e32 v9, v9, v16
	v_add_f32_e32 v16, v18, v21
	v_mul_f32_e32 v18, 0x3f7e222b, v2
	v_add_f32_e32 v11, v11, v20
	v_fmamk_f32 v20, v12, 0x3df6dbef, v18
	v_fma_f32 v18, v12, s9, -v18
	v_add_f32_e32 v18, v18, v22
	v_mul_f32_e32 v22, 0xbf52af12, v2
	v_add_f32_e32 v19, v19, v29
	v_mul_f32_e32 v21, 0x3df6dbef, v17
	v_fmamk_f32 v29, v12, 0x3f116cb1, v22
	v_fma_f32 v22, v12, s6, -v22
	v_add_f32_e32 v20, v20, v23
	v_fmamk_f32 v23, v8, 0xbf7e222b, v21
	v_fmac_f32_e32 v21, 0x3f7e222b, v8
	v_add_f32_e32 v22, v22, v32
	v_mul_f32_e32 v32, 0x3e750f2a, v2
	v_add_f32_e32 v21, v21, v31
	v_add_f32_e32 v29, v29, v46
	v_mul_f32_e32 v31, 0x3f116cb1, v17
	v_fmamk_f32 v46, v12, 0xbf788fa5, v32
	v_fma_f32 v32, v12, s8, -v32
	v_add_f32_e32 v23, v23, v45
	v_fmamk_f32 v45, v8, 0x3f52af12, v31
	v_fmac_f32_e32 v31, 0xbf52af12, v8
	v_add_f32_e32 v32, v32, v48
	v_mul_f32_e32 v48, 0x3eedf032, v2
	v_add_f32_e32 v31, v31, v47
	v_add_f32_e32 v46, v46, v50
	v_mul_f32_e32 v47, 0xbf788fa5, v17
	v_fmamk_f32 v50, v12, 0x3f62ad3f, v48
	v_fma_f32 v48, v12, s7, -v48
	v_mul_f32_e32 v2, 0xbf6f5d39, v2
	v_add_f32_e32 v45, v45, v49
	v_fmamk_f32 v49, v8, 0xbe750f2a, v47
	v_fmac_f32_e32 v47, 0x3e750f2a, v8
	v_add_f32_e32 v48, v48, v52
	v_fmamk_f32 v52, v12, 0xbeb58ec6, v2
	v_fma_f32 v2, v12, s10, -v2
	v_add_f32_e32 v47, v47, v51
	v_mul_f32_e32 v51, 0x3f62ad3f, v17
	v_mul_f32_e32 v17, 0xbeb58ec6, v17
	v_add_f32_e32 v2, v2, v10
	v_add_f32_e32 v10, v5, v7
	v_sub_f32_e32 v5, v5, v7
	v_add_f32_e32 v49, v49, v53
	v_add_f32_e32 v50, v50, v54
	v_fmamk_f32 v53, v8, 0xbeedf032, v51
	v_fmac_f32_e32 v51, 0x3eedf032, v8
	v_fmamk_f32 v54, v8, 0x3f6f5d39, v17
	v_fmac_f32_e32 v17, 0xbf6f5d39, v8
	v_add_f32_e32 v8, v4, v6
	v_sub_f32_e32 v4, v4, v6
	v_mul_f32_e32 v6, 0xbe750f2a, v5
	v_fmamk_f32 v7, v8, 0xbf788fa5, v6
	v_add_f32_e32 v7, v7, v11
	v_mul_f32_e32 v11, 0xbf788fa5, v10
	v_add_f32_e32 v3, v17, v3
	v_fmamk_f32 v12, v4, 0x3e750f2a, v11
	v_fma_f32 v6, v8, s8, -v6
	v_fmac_f32_e32 v11, 0xbe750f2a, v4
	v_mul_f32_e32 v17, 0x3f62ad3f, v10
	v_add_f32_e32 v12, v12, v19
	v_add_f32_e32 v6, v6, v9
	;; [unrolled: 1-line block ×3, first 2 shown]
	v_mul_f32_e32 v11, 0x3eedf032, v5
	v_fmamk_f32 v19, v4, 0xbeedf032, v17
	v_fmac_f32_e32 v17, 0x3eedf032, v4
	v_fmamk_f32 v16, v8, 0x3f62ad3f, v11
	v_fma_f32 v11, v8, s7, -v11
	v_add_f32_e32 v17, v17, v21
	v_mul_f32_e32 v21, 0xbf3f9e67, v10
	v_add_f32_e32 v19, v19, v23
	v_add_f32_e32 v11, v11, v18
	v_mul_f32_e32 v18, 0xbf29c268, v5
	v_fmamk_f32 v23, v4, 0x3f29c268, v21
	v_fmac_f32_e32 v21, 0xbf29c268, v4
	v_add_f32_e32 v83, v90, v83
	v_add_f32_e32 v81, v81, v84
	;; [unrolled: 1-line block ×3, first 2 shown]
	v_fmamk_f32 v20, v8, 0xbf3f9e67, v18
	v_fma_f32 v18, v8, s12, -v18
	v_add_f32_e32 v21, v21, v31
	v_mul_f32_e32 v31, 0x3f116cb1, v10
	v_add_f32_e32 v86, v86, v87
	v_add_f32_e32 v83, v85, v83
	;; [unrolled: 1-line block ×5, first 2 shown]
	v_mul_f32_e32 v22, 0x3f52af12, v5
	v_fmamk_f32 v45, v4, 0xbf52af12, v31
	v_add_f32_e32 v82, v82, v86
	v_add_f32_e32 v78, v78, v83
	;; [unrolled: 1-line block ×4, first 2 shown]
	v_fmamk_f32 v29, v8, 0x3f116cb1, v22
	v_add_f32_e32 v77, v45, v49
	v_mul_f32_e32 v45, 0xbeb58ec6, v10
	v_add_f32_e32 v79, v79, v82
	v_add_f32_e32 v53, v53, v78
	;; [unrolled: 1-line block ×3, first 2 shown]
	v_fmamk_f32 v46, v4, 0x3f6f5d39, v45
	v_mul_f32_e32 v10, 0x3df6dbef, v10
	v_add_f32_e32 v54, v54, v79
	v_fmac_f32_e32 v31, 0x3f52af12, v4
	v_add_f32_e32 v79, v46, v53
	v_fmac_f32_e32 v45, 0xbf6f5d39, v4
	v_fmamk_f32 v46, v4, 0xbf7e222b, v10
	v_fmac_f32_e32 v10, 0x3f7e222b, v4
	v_lshrrev_b32_e32 v4, 1, v24
	v_mul_u32_u24_e32 v4, 26, v4
	v_or_b32_e32 v4, v4, v72
	v_lshl_add_u32 v4, v4, 2, 0
	v_add_f32_e32 v55, v55, v80
	ds_write2_b32 v4, v1, v33 offset1:2
	ds_write2_b32 v4, v34, v36 offset0:4 offset1:6
	ds_write2_b32 v4, v38, v40 offset0:8 offset1:10
	;; [unrolled: 1-line block ×5, first 2 shown]
	ds_write_b32 v4, v30 offset:96
	v_lshrrev_b32_e32 v1, 1, v68
	v_add_f32_e32 v51, v51, v55
	v_fma_f32 v22, v8, s6, -v22
	v_add_f32_e32 v78, v31, v47
	v_mul_f32_e32 v31, 0xbf6f5d39, v5
	v_mul_f32_e32 v5, 0x3f7e222b, v5
	v_mul_u32_u24_e32 v1, 26, v1
	v_add_f32_e32 v22, v22, v32
	v_fmamk_f32 v32, v8, 0xbeb58ec6, v31
	v_fma_f32 v31, v8, s10, -v31
	v_add_f32_e32 v80, v45, v51
	v_fmamk_f32 v45, v8, 0x3df6dbef, v5
	v_or_b32_e32 v1, v1, v72
	v_subrev_u32_e32 v72, 26, v24
	v_add_f32_e32 v32, v32, v50
	v_add_f32_e32 v31, v31, v48
	;; [unrolled: 1-line block ×3, first 2 shown]
	v_fma_f32 v5, v8, s9, -v5
	v_lshl_add_u32 v1, v1, 2, 0
	v_cndmask_b32_e64 v89, v72, v24, s[2:3]
	v_add_f32_e32 v81, v46, v54
	v_add_f32_e32 v2, v5, v2
	v_add_f32_e32 v3, v10, v3
	ds_write2_b32 v1, v44, v7 offset1:2
	ds_write2_b32 v1, v16, v20 offset0:4 offset1:6
	ds_write2_b32 v1, v29, v32 offset0:8 offset1:10
	;; [unrolled: 1-line block ×5, first 2 shown]
	ds_write_b32 v1, v6 offset:96
	s_waitcnt lgkmcnt(0)
	; wave barrier
	s_waitcnt lgkmcnt(0)
	ds_read2_b32 v[30:31], v66 offset1:52
	ds_read2_b32 v[54:55], v66 offset0:104 offset1:156
	ds_read2_b32 v[52:53], v62 offset0:80 offset1:132
	;; [unrolled: 1-line block ×12, first 2 shown]
	s_waitcnt lgkmcnt(0)
	; wave barrier
	s_waitcnt lgkmcnt(0)
	ds_write2_b32 v4, v0, v14 offset1:2
	ds_write2_b32 v4, v15, v56 offset0:4 offset1:6
	ds_write2_b32 v4, v58, v60 offset0:8 offset1:10
	;; [unrolled: 1-line block ×5, first 2 shown]
	ds_write_b32 v4, v13 offset:96
	ds_write2_b32 v1, v76, v12 offset1:2
	ds_write2_b32 v1, v19, v23 offset0:4 offset1:6
	ds_write2_b32 v1, v77, v79 offset0:8 offset1:10
	;; [unrolled: 1-line block ×5, first 2 shown]
	ds_write_b32 v1, v9 offset:96
	v_mul_i32_i24_e32 v0, 12, v89
	v_mov_b32_e32 v1, 0
	v_lshl_add_u64 v[28:29], v[0:1], 3, s[4:5]
	s_waitcnt lgkmcnt(0)
	; wave barrier
	s_waitcnt lgkmcnt(0)
	global_load_dwordx4 v[16:19], v[28:29], off offset:192
	global_load_dwordx4 v[8:11], v[28:29], off offset:208
	;; [unrolled: 1-line block ×6, first 2 shown]
	v_mul_lo_u16_sdwa v28, v68, s11 dst_sel:DWORD dst_unused:UNUSED_PAD src0_sel:BYTE_0 src1_sel:DWORD
	v_lshrrev_b16_e32 v86, 11, v28
	v_mul_lo_u16_e32 v28, 26, v86
	v_sub_u16_e32 v87, v68, v28
	v_mov_b32_e32 v28, 12
	v_mul_u32_u24_sdwa v28, v87, v28 dst_sel:DWORD dst_unused:UNUSED_PAD src0_sel:BYTE_0 src1_sel:DWORD
	v_lshlrev_b32_e32 v58, 3, v28
	global_load_dwordx4 v[94:97], v58, s[4:5] offset:192
	global_load_dwordx4 v[98:101], v58, s[4:5] offset:208
	;; [unrolled: 1-line block ×4, first 2 shown]
	ds_read2_b32 v[28:29], v66 offset1:52
	ds_read2_b32 v[118:119], v66 offset0:104 offset1:156
	ds_read2_b32 v[120:121], v62 offset0:80 offset1:132
	;; [unrolled: 1-line block ×12, first 2 shown]
	global_load_dwordx4 v[110:113], v58, s[4:5] offset:272
	global_load_dwordx4 v[114:117], v58, s[4:5] offset:256
	s_mov_b32 s11, s6
	s_waitcnt lgkmcnt(0)
	; wave barrier
	s_waitcnt vmcnt(11) lgkmcnt(0)
	v_mul_f32_e32 v77, v118, v17
	v_fmac_f32_e32 v77, v54, v16
	v_mul_f32_e32 v17, v54, v17
	s_waitcnt vmcnt(8)
	v_mul_f32_e32 v60, v130, v1
	v_mul_f32_e32 v1, v42, v1
	v_fmac_f32_e32 v60, v42, v0
	v_fma_f32 v61, v130, v0, -v1
	v_mul_f32_e32 v0, v40, v3
	v_fma_f32 v74, v132, v2, -v0
	s_waitcnt vmcnt(7)
	v_mul_f32_e32 v0, v38, v21
	v_fma_f32 v79, v134, v20, -v0
	v_mul_f32_e32 v0, v36, v23
	v_fma_f32 v83, v136, v22, -v0
	s_waitcnt vmcnt(6)
	v_mul_f32_e32 v0, v34, v13
	v_fma_f32 v90, v138, v12, -v0
	v_mul_f32_e32 v0, v32, v15
	v_mul_f32_e32 v84, v120, v19
	v_fma_f32 v93, v56, v14, -v0
	s_waitcnt vmcnt(5)
	v_mul_f32_e32 v54, v119, v95
	v_mul_f32_e32 v0, v55, v95
	v_fma_f32 v91, v118, v16, -v17
	v_fmac_f32_e32 v84, v52, v18
	v_mul_f32_e32 v16, v52, v19
	v_fmac_f32_e32 v54, v55, v94
	v_fma_f32 v55, v119, v94, -v0
	v_mul_f32_e32 v52, v121, v97
	v_mul_f32_e32 v0, v53, v97
	;; [unrolled: 1-line block ×3, first 2 shown]
	v_fmac_f32_e32 v52, v53, v96
	v_fma_f32 v53, v121, v96, -v0
	s_waitcnt vmcnt(4)
	v_mul_f32_e32 v0, v51, v99
	v_fmac_f32_e32 v80, v50, v8
	v_mul_f32_e32 v9, v50, v9
	v_mul_f32_e32 v68, v126, v5
	v_fma_f32 v50, v123, v98, -v0
	v_mul_f32_e32 v0, v49, v101
	v_fmac_f32_e32 v68, v46, v4
	v_mul_f32_e32 v5, v46, v5
	v_fma_f32 v46, v125, v100, -v0
	s_waitcnt vmcnt(2)
	v_mul_f32_e32 v0, v47, v107
	v_mul_f32_e32 v82, v136, v23
	v_fma_f32 v42, v127, v106, -v0
	v_mul_f32_e32 v0, v45, v109
	v_fma_f32 v69, v126, v4, -v5
	v_mul_f32_e32 v78, v134, v21
	v_fmac_f32_e32 v82, v36, v22
	v_fma_f32 v5, v129, v108, -v0
	v_mul_f32_e32 v36, v131, v103
	v_mul_f32_e32 v0, v43, v103
	;; [unrolled: 1-line block ×3, first 2 shown]
	v_fmac_f32_e32 v78, v38, v20
	v_mul_f32_e32 v3, v129, v109
	v_fmac_f32_e32 v36, v43, v102
	v_fma_f32 v38, v131, v102, -v0
	v_mul_f32_e32 v43, v133, v105
	v_mul_f32_e32 v0, v41, v105
	v_fmac_f32_e32 v73, v40, v2
	v_mul_f32_e32 v40, v127, v107
	v_fmac_f32_e32 v3, v45, v108
	v_fmac_f32_e32 v43, v41, v104
	v_fma_f32 v41, v133, v104, -v0
	s_waitcnt vmcnt(0)
	v_mul_f32_e32 v45, v135, v115
	v_mul_f32_e32 v0, v39, v115
	;; [unrolled: 1-line block ×3, first 2 shown]
	v_fmac_f32_e32 v40, v47, v106
	v_fmac_f32_e32 v45, v39, v114
	v_fma_f32 v39, v135, v114, -v0
	v_mul_f32_e32 v47, v137, v117
	v_mul_f32_e32 v0, v37, v117
	v_fma_f32 v81, v122, v8, -v9
	v_fmac_f32_e32 v75, v48, v10
	v_mul_f32_e32 v8, v48, v11
	v_mul_f32_e32 v48, v123, v99
	v_fmac_f32_e32 v47, v37, v116
	v_fma_f32 v37, v137, v116, -v0
	v_mul_f32_e32 v0, v35, v111
	v_fmac_f32_e32 v48, v51, v98
	v_fma_f32 v51, v139, v110, -v0
	v_mul_f32_e32 v0, v33, v113
	v_mul_f32_e32 v92, v56, v15
	;; [unrolled: 1-line block ×3, first 2 shown]
	v_fma_f32 v57, v57, v112, -v0
	v_add_f32_e32 v0, v30, v77
	v_add_f32_e32 v0, v0, v84
	;; [unrolled: 1-line block ×3, first 2 shown]
	v_mul_f32_e32 v58, v128, v7
	v_add_f32_e32 v0, v0, v75
	v_fmac_f32_e32 v58, v44, v6
	v_add_f32_e32 v0, v0, v68
	v_add_f32_e32 v0, v0, v58
	;; [unrolled: 1-line block ×4, first 2 shown]
	v_mul_f32_e32 v88, v138, v13
	v_add_f32_e32 v0, v0, v78
	v_fmac_f32_e32 v88, v34, v12
	v_add_f32_e32 v0, v0, v82
	v_fma_f32 v85, v120, v18, -v16
	v_mul_f32_e32 v4, v44, v7
	v_fmac_f32_e32 v92, v32, v14
	v_add_f32_e32 v0, v0, v88
	v_sub_f32_e32 v1, v91, v93
	v_fma_f32 v76, v124, v10, -v8
	v_fma_f32 v59, v128, v6, -v4
	v_add_f32_e32 v23, v0, v92
	v_add_f32_e32 v0, v77, v92
	v_mul_f32_e32 v2, 0xbeedf032, v1
	v_mul_f32_e32 v6, 0xbf52af12, v1
	;; [unrolled: 1-line block ×6, first 2 shown]
	v_sub_f32_e32 v15, v85, v90
	v_fmamk_f32 v4, v0, 0x3f62ad3f, v2
	v_fma_f32 v2, v0, s7, -v2
	v_fmamk_f32 v7, v0, 0x3f116cb1, v6
	v_fma_f32 v6, v0, s6, -v6
	;; [unrolled: 2-line block ×6, first 2 shown]
	v_add_f32_e32 v1, v84, v88
	v_mul_f32_e32 v16, 0xbf52af12, v15
	v_add_f32_e32 v2, v30, v2
	v_fmamk_f32 v17, v1, 0x3f116cb1, v16
	v_fma_f32 v16, v1, s6, -v16
	v_add_f32_e32 v4, v30, v4
	v_add_f32_e32 v2, v16, v2
	v_mul_f32_e32 v16, 0xbf6f5d39, v15
	v_add_f32_e32 v6, v30, v6
	v_add_f32_e32 v4, v17, v4
	v_fmamk_f32 v17, v1, 0xbeb58ec6, v16
	v_fma_f32 v16, v1, s10, -v16
	v_add_f32_e32 v7, v30, v7
	v_add_f32_e32 v6, v16, v6
	v_mul_f32_e32 v16, 0xbe750f2a, v15
	v_add_f32_e32 v8, v30, v8
	;; [unrolled: 7-line block ×4, first 2 shown]
	v_add_f32_e32 v11, v17, v11
	v_fmamk_f32 v17, v1, 0x3df6dbef, v16
	v_fma_f32 v16, v1, s9, -v16
	v_mul_f32_e32 v15, 0x3eedf032, v15
	v_add_f32_e32 v14, v30, v14
	v_add_f32_e32 v0, v30, v0
	v_add_f32_e32 v12, v16, v12
	v_fmamk_f32 v16, v1, 0x3f62ad3f, v15
	v_fma_f32 v1, v1, s7, -v15
	v_sub_f32_e32 v15, v81, v83
	v_add_f32_e32 v13, v30, v13
	v_add_f32_e32 v14, v16, v14
	;; [unrolled: 1-line block ×4, first 2 shown]
	v_mul_f32_e32 v16, 0xbf7e222b, v15
	v_add_f32_e32 v13, v17, v13
	v_fmamk_f32 v17, v1, 0x3df6dbef, v16
	v_fma_f32 v16, v1, s9, -v16
	v_add_f32_e32 v2, v16, v2
	v_mul_f32_e32 v16, 0xbe750f2a, v15
	v_add_f32_e32 v4, v17, v4
	v_fmamk_f32 v17, v1, 0xbf788fa5, v16
	v_fma_f32 v16, v1, s8, -v16
	v_add_f32_e32 v6, v16, v6
	;; [unrolled: 5-line block ×4, first 2 shown]
	v_mul_f32_e32 v16, 0xbf52af12, v15
	v_add_f32_e32 v11, v17, v11
	v_fmamk_f32 v17, v1, 0x3f116cb1, v16
	v_fma_f32 v16, v1, s6, -v16
	v_mul_f32_e32 v15, 0xbf29c268, v15
	v_add_f32_e32 v12, v16, v12
	v_fmamk_f32 v16, v1, 0xbf3f9e67, v15
	v_fma_f32 v1, v1, s12, -v15
	v_sub_f32_e32 v15, v76, v79
	v_add_f32_e32 v14, v16, v14
	v_add_f32_e32 v0, v1, v0
	v_add_f32_e32 v1, v75, v78
	v_mul_f32_e32 v16, 0xbf6f5d39, v15
	v_add_f32_e32 v13, v17, v13
	v_fmamk_f32 v17, v1, 0xbeb58ec6, v16
	v_fma_f32 v16, v1, s10, -v16
	v_add_f32_e32 v2, v16, v2
	v_mul_f32_e32 v16, 0x3f29c268, v15
	v_add_f32_e32 v4, v17, v4
	v_fmamk_f32 v17, v1, 0xbf3f9e67, v16
	v_fma_f32 v16, v1, s12, -v16
	v_add_f32_e32 v6, v16, v6
	;; [unrolled: 5-line block ×4, first 2 shown]
	v_mul_f32_e32 v16, 0x3e750f2a, v15
	v_add_f32_e32 v11, v17, v11
	v_fmamk_f32 v17, v1, 0xbf788fa5, v16
	v_fma_f32 v16, v1, s8, -v16
	v_mul_f32_e32 v15, 0x3f52af12, v15
	v_add_f32_e32 v12, v16, v12
	v_fmamk_f32 v16, v1, 0x3f116cb1, v15
	v_fma_f32 v1, v1, s6, -v15
	v_sub_f32_e32 v15, v69, v74
	v_add_f32_e32 v14, v16, v14
	v_add_f32_e32 v0, v1, v0
	;; [unrolled: 1-line block ×3, first 2 shown]
	v_mul_f32_e32 v16, 0xbf29c268, v15
	v_add_f32_e32 v13, v17, v13
	v_fmamk_f32 v17, v1, 0xbf3f9e67, v16
	v_fma_f32 v16, v1, s12, -v16
	v_add_f32_e32 v2, v16, v2
	v_mul_f32_e32 v16, 0x3f7e222b, v15
	v_add_f32_e32 v4, v17, v4
	v_fmamk_f32 v17, v1, 0x3df6dbef, v16
	v_add_f32_e32 v17, v17, v7
	v_fma_f32 v7, v1, s9, -v16
	v_add_f32_e32 v6, v7, v6
	v_mul_f32_e32 v7, 0xbf52af12, v15
	v_fmamk_f32 v16, v1, 0x3f116cb1, v7
	v_fma_f32 v7, v1, s6, -v7
	v_add_f32_e32 v8, v7, v8
	v_mul_f32_e32 v7, 0x3e750f2a, v15
	v_add_f32_e32 v16, v16, v9
	v_fmamk_f32 v9, v1, 0xbf788fa5, v7
	v_fma_f32 v7, v1, s8, -v7
	v_add_f32_e32 v10, v7, v10
	v_mul_f32_e32 v7, 0x3eedf032, v15
	v_add_f32_e32 v18, v9, v11
	;; [unrolled: 5-line block ×3, first 2 shown]
	v_fmamk_f32 v9, v1, 0xbeb58ec6, v7
	v_fma_f32 v1, v1, s10, -v7
	v_sub_f32_e32 v20, v59, v61
	v_mul_f32_e32 v44, v125, v101
	v_add_f32_e32 v0, v1, v0
	v_add_f32_e32 v1, v58, v60
	v_mul_f32_e32 v7, 0xbe750f2a, v20
	v_fmac_f32_e32 v44, v49, v100
	v_mul_f32_e32 v49, v139, v111
	v_add_f32_e32 v14, v9, v14
	v_fmamk_f32 v9, v1, 0xbf788fa5, v7
	v_fmac_f32_e32 v49, v35, v110
	v_add_f32_e32 v35, v9, v4
	v_fma_f32 v4, v1, s8, -v7
	v_add_f32_e32 v7, v4, v2
	v_mul_f32_e32 v2, 0x3eedf032, v20
	v_fmamk_f32 v4, v1, 0x3f62ad3f, v2
	v_fma_f32 v2, v1, s7, -v2
	v_add_f32_e32 v9, v2, v6
	v_mul_f32_e32 v2, 0xbf29c268, v20
	v_fmac_f32_e32 v56, v33, v112
	v_add_f32_e32 v33, v4, v17
	v_fmamk_f32 v4, v1, 0xbf3f9e67, v2
	v_fma_f32 v2, v1, s12, -v2
	v_add_f32_e32 v11, v2, v8
	v_mul_f32_e32 v2, 0x3f52af12, v20
	v_add_f32_e32 v34, v4, v16
	v_fmamk_f32 v4, v1, 0x3f116cb1, v2
	v_fma_f32 v2, v1, s6, -v2
	v_add_f32_e32 v13, v2, v10
	v_mul_f32_e32 v2, 0xbf6f5d39, v20
	;; [unrolled: 5-line block ×3, first 2 shown]
	v_add_f32_e32 v32, v4, v19
	v_fmamk_f32 v4, v1, 0x3df6dbef, v2
	v_fma_f32 v1, v1, s9, -v2
	v_add_f32_e32 v19, v1, v0
	v_add_f32_e32 v0, v31, v54
	;; [unrolled: 1-line block ×12, first 2 shown]
	v_sub_f32_e32 v16, v55, v57
	v_add_f32_e32 v21, v0, v56
	v_add_f32_e32 v12, v54, v56
	v_mul_f32_e32 v0, 0xbf7e222b, v16
	v_sub_f32_e32 v22, v53, v51
	v_fmamk_f32 v1, v12, 0x3df6dbef, v0
	v_fma_f32 v0, v12, s9, -v0
	v_add_f32_e32 v18, v52, v49
	v_mul_f32_e32 v20, 0xbe750f2a, v22
	v_add_f32_e32 v0, v31, v0
	v_mul_f32_e32 v2, 0xbf6f5d39, v16
	v_fmamk_f32 v94, v18, 0xbf788fa5, v20
	v_fma_f32 v20, v18, s8, -v20
	v_add_f32_e32 v17, v4, v14
	v_add_f32_e32 v1, v31, v1
	v_fmamk_f32 v4, v12, 0xbeb58ec6, v2
	v_fma_f32 v2, v12, s10, -v2
	v_add_f32_e32 v0, v20, v0
	v_mul_f32_e32 v20, 0x3f29c268, v22
	v_add_f32_e32 v2, v31, v2
	v_mul_f32_e32 v6, 0xbf29c268, v16
	v_add_f32_e32 v1, v94, v1
	v_fmamk_f32 v94, v18, 0xbf3f9e67, v20
	v_fma_f32 v20, v18, s12, -v20
	v_add_f32_e32 v4, v31, v4
	v_fmamk_f32 v8, v12, 0xbf3f9e67, v6
	v_fma_f32 v6, v12, s12, -v6
	v_add_f32_e32 v2, v20, v2
	v_mul_f32_e32 v20, 0x3f7e222b, v22
	v_add_f32_e32 v6, v31, v6
	v_mul_f32_e32 v10, 0xbe750f2a, v16
	v_add_f32_e32 v4, v94, v4
	v_fmamk_f32 v94, v18, 0x3df6dbef, v20
	v_fma_f32 v20, v18, s9, -v20
	v_add_f32_e32 v8, v31, v8
	v_fmamk_f32 v14, v12, 0xbf788fa5, v10
	v_fma_f32 v10, v12, s8, -v10
	v_add_f32_e32 v6, v20, v6
	v_mul_f32_e32 v20, 0x3eedf032, v22
	v_add_f32_e32 v14, v31, v14
	v_add_f32_e32 v10, v31, v10
	;; [unrolled: 1-line block ×3, first 2 shown]
	v_fmamk_f32 v94, v18, 0x3f62ad3f, v20
	v_fma_f32 v20, v18, s7, -v20
	v_add_f32_e32 v14, v94, v14
	v_add_f32_e32 v94, v20, v10
	v_sub_f32_e32 v20, v50, v37
	v_add_f32_e32 v10, v48, v47
	v_mul_f32_e32 v95, 0x3f6f5d39, v20
	v_fmamk_f32 v96, v10, 0xbeb58ec6, v95
	v_fma_f32 v95, v10, s10, -v95
	v_add_f32_e32 v0, v95, v0
	v_mul_f32_e32 v95, 0x3eedf032, v20
	v_add_f32_e32 v1, v96, v1
	v_fmamk_f32 v96, v10, 0x3f62ad3f, v95
	v_fma_f32 v95, v10, s7, -v95
	v_add_f32_e32 v2, v95, v2
	v_mul_f32_e32 v95, 0xbf52af12, v20
	v_add_f32_e32 v4, v96, v4
	;; [unrolled: 5-line block ×3, first 2 shown]
	v_fmamk_f32 v96, v10, 0xbf3f9e67, v6
	v_add_f32_e32 v96, v96, v14
	v_fma_f32 v6, v10, s12, -v6
	v_sub_f32_e32 v14, v46, v39
	v_add_f32_e32 v94, v6, v94
	v_add_f32_e32 v6, v44, v45
	v_mul_f32_e32 v97, 0x3eedf032, v14
	v_fmamk_f32 v98, v6, 0x3f62ad3f, v97
	v_fma_f32 v97, v6, s7, -v97
	v_add_f32_e32 v97, v97, v0
	v_mul_f32_e32 v0, 0xbf7e222b, v14
	v_add_f32_e32 v1, v98, v1
	v_fmamk_f32 v98, v6, 0x3df6dbef, v0
	v_fma_f32 v0, v6, s9, -v0
	v_add_f32_e32 v2, v0, v2
	v_mul_f32_e32 v0, 0x3e750f2a, v14
	v_add_f32_e32 v4, v98, v4
	;; [unrolled: 5-line block ×3, first 2 shown]
	v_fmamk_f32 v8, v6, 0x3f116cb1, v0
	v_add_f32_e32 v103, v8, v96
	v_fma_f32 v0, v6, s6, -v0
	v_sub_f32_e32 v8, v42, v41
	v_add_f32_e32 v94, v0, v94
	v_add_f32_e32 v0, v40, v43
	v_mul_f32_e32 v96, 0xbf52af12, v8
	v_fmamk_f32 v98, v0, 0x3f116cb1, v96
	v_add_f32_e32 v100, v98, v1
	v_fma_f32 v1, v0, s6, -v96
	v_add_f32_e32 v101, v1, v97
	v_mul_f32_e32 v1, 0x3e750f2a, v8
	v_fmamk_f32 v96, v0, 0xbf788fa5, v1
	v_fma_f32 v1, v0, s8, -v1
	v_add_f32_e32 v99, v1, v2
	v_mul_f32_e32 v1, 0x3eedf032, v8
	v_fmamk_f32 v2, v0, 0x3f62ad3f, v1
	v_fma_f32 v1, v0, s7, -v1
	v_add_f32_e32 v97, v1, v95
	v_mul_f32_e32 v1, 0xbf6f5d39, v8
	v_add_f32_e32 v98, v96, v4
	v_add_f32_e32 v96, v2, v102
	v_fmamk_f32 v2, v0, 0xbeb58ec6, v1
	v_add_f32_e32 v95, v2, v103
	v_pk_mul_f32 v[102:103], v[16:17], s[24:25] op_sel_hi:[0,1]
	v_fma_f32 v1, v0, s10, -v1
	v_pk_fma_f32 v[104:105], v[12:13], s[6:7], v[102:103] op_sel_hi:[0,1,1]
	v_add_f32_e32 v94, v1, v94
	v_add_f32_e32 v1, v31, v105
	;; [unrolled: 1-line block ×3, first 2 shown]
	v_pk_fma_f32 v[102:103], v[12:13], s[6:7], v[102:103] op_sel_hi:[0,1,1] neg_lo:[0,0,1] neg_hi:[0,0,1]
	v_mov_b32_e32 v12, v31
	v_pk_mul_f32 v[104:105], v[22:23], s[22:23] op_sel_hi:[0,1]
	v_pk_add_f32 v[102:103], v[12:13], v[102:103] op_sel_hi:[0,1]
	v_pk_fma_f32 v[106:107], v[18:19], s[10:11], v[104:105] op_sel_hi:[0,1,1]
	v_pk_fma_f32 v[104:105], v[18:19], s[10:11], v[104:105] op_sel_hi:[0,1,1] neg_lo:[0,0,1] neg_hi:[0,0,1]
	v_pk_add_f32 v[102:103], v[104:105], v[102:103]
	v_pk_mul_f32 v[104:105], v[20:21], s[16:17] op_sel_hi:[0,1]
	v_add_f32_e32 v1, v107, v1
	v_add_f32_e32 v12, v106, v16
	v_pk_fma_f32 v[106:107], v[10:11], s[8:9], v[104:105] op_sel_hi:[0,1,1]
	v_pk_fma_f32 v[104:105], v[10:11], s[8:9], v[104:105] op_sel_hi:[0,1,1] neg_lo:[0,0,1] neg_hi:[0,0,1]
	v_pk_add_f32 v[102:103], v[104:105], v[102:103]
	v_pk_mul_f32 v[104:105], v[14:15], s[20:21] op_sel_hi:[0,1]
	v_add_f32_e32 v1, v107, v1
	v_add_f32_e32 v12, v106, v12
	v_pk_fma_f32 v[106:107], v[6:7], s[12:13], v[104:105] op_sel_hi:[0,1,1]
	v_pk_fma_f32 v[104:105], v[6:7], s[12:13], v[104:105] op_sel_hi:[0,1,1] neg_lo:[0,0,1] neg_hi:[0,0,1]
	v_add_f32_e32 v1, v107, v1
	v_pk_add_f32 v[102:103], v[104:105], v[102:103]
	s_mov_b32 s20, s9
	s_mov_b32 s21, s12
	v_pk_mul_f32 v[104:105], v[8:9], s[18:19] op_sel_hi:[0,1]
	v_add_f32_e32 v10, v106, v12
	v_pk_fma_f32 v[106:107], v[0:1], s[20:21], v[104:105] op_sel_hi:[0,1,1]
	v_sub_f32_e32 v4, v5, v38
	v_add_f32_e32 v6, v107, v1
	v_pk_fma_f32 v[0:1], v[0:1], s[20:21], v[104:105] op_sel_hi:[0,1,1] neg_lo:[0,0,1] neg_hi:[0,0,1]
	v_add_f32_e32 v2, v3, v36
	v_add_f32_e32 v8, v106, v10
	v_pk_add_f32 v[0:1], v[0:1], v[102:103]
	s_mov_b32 s18, s7
	s_mov_b32 s19, s8
	v_pk_mul_f32 v[102:103], v[4:5], s[14:15] op_sel_hi:[0,1]
	v_mul_f32_e32 v10, 0xbf29c268, v4
	v_mul_f32_e32 v14, 0x3f52af12, v4
	;; [unrolled: 1-line block ×4, first 2 shown]
	v_pk_fma_f32 v[104:105], v[2:3], s[18:19], v[102:103] op_sel_hi:[0,1,1]
	v_pk_fma_f32 v[102:103], v[2:3], s[18:19], v[102:103] op_sel_hi:[0,1,1] neg_lo:[0,0,1] neg_hi:[0,0,1]
	v_fmamk_f32 v12, v2, 0xbf3f9e67, v10
	v_fma_f32 v10, v2, s12, -v10
	v_fmamk_f32 v16, v2, 0x3f116cb1, v14
	v_fma_f32 v14, v2, s6, -v14
	;; [unrolled: 2-line block ×4, first 2 shown]
	v_mov_b32_e32 v4, 0x548
	v_cndmask_b32_e32 v4, 0, v4, vcc
	v_lshlrev_b32_e32 v31, 2, v89
	v_add3_u32 v89, 0, v4, v31
	v_add_u32_e32 v4, 0x400, v89
	ds_write2_b32 v89, v23, v35 offset1:26
	ds_write2_b32 v89, v33, v34 offset0:52 offset1:78
	ds_write2_b32 v89, v30, v32 offset0:104 offset1:130
	;; [unrolled: 1-line block ×5, first 2 shown]
	ds_write_b32 v89, v7 offset:1248
	v_mov_b32_e32 v7, 2
	v_mul_u32_u24_e32 v4, 0x548, v86
	v_lshlrev_b32_sdwa v7, v7, v87 dst_sel:DWORD dst_unused:UNUSED_PAD src0_sel:DWORD src1_sel:BYTE_0
	v_add_f32_e32 v6, v105, v6
	v_add_f32_e32 v2, v2, v94
	v_add3_u32 v86, 0, v4, v7
	v_add_f32_e32 v8, v104, v8
	v_pk_add_f32 v[0:1], v[102:103], v[0:1]
	v_add_f32_e32 v12, v12, v100
	v_add_f32_e32 v10, v10, v101
	;; [unrolled: 1-line block ×7, first 2 shown]
	ds_write2_b32 v86, v21, v6 offset1:26
	ds_write2_b32 v86, v8, v12 offset0:52 offset1:78
	ds_write2_b32 v86, v16, v20 offset0:104 offset1:130
	;; [unrolled: 1-line block ×4, first 2 shown]
	v_add_u32_e32 v2, 0x400, v86
	ds_write2_b32 v2, v10, v0 offset0:4 offset1:30
	ds_write_b32 v86, v1 offset:1248
	v_add_u32_e32 v2, 0xe00, v66
	s_waitcnt lgkmcnt(0)
	; wave barrier
	s_waitcnt lgkmcnt(0)
	ds_read2_b32 v[22:23], v66 offset1:52
	ds_read2_b32 v[30:31], v67 offset0:82 offset1:134
	ds_read2_b32 v[32:33], v63 offset0:164 offset1:216
	;; [unrolled: 1-line block ×11, first 2 shown]
	s_and_saveexec_b64 s[6:7], vcc
	s_xor_b64 s[6:7], exec, s[6:7]
	s_or_saveexec_b64 s[6:7], s[6:7]
                                        ; implicit-def: $vgpr2
                                        ; implicit-def: $vgpr4
	s_xor_b64 exec, exec, s[6:7]
	s_cbranch_execz .LBB0_13
; %bb.12:
	ds_read_b32 v0, v66 offset:1248
	ds_read_b32 v1, v66 offset:2600
	;; [unrolled: 1-line block ×4, first 2 shown]
.LBB0_13:
	s_or_b64 exec, exec, s[6:7]
	v_add_f32_e32 v62, v28, v91
	v_add_f32_e32 v62, v62, v85
	;; [unrolled: 1-line block ×13, first 2 shown]
	v_sub_f32_e32 v64, v77, v92
	v_mul_f32_e32 v65, 0x3f62ad3f, v63
	v_mul_f32_e32 v77, 0x3f116cb1, v63
	;; [unrolled: 1-line block ×6, first 2 shown]
	v_fmamk_f32 v67, v64, 0x3eedf032, v65
	v_fmac_f32_e32 v65, 0xbeedf032, v64
	v_fmamk_f32 v87, v64, 0x3f52af12, v77
	v_fmac_f32_e32 v77, 0xbf52af12, v64
	;; [unrolled: 2-line block ×6, first 2 shown]
	v_add_f32_e32 v67, v28, v67
	v_add_f32_e32 v65, v28, v65
	;; [unrolled: 1-line block ×13, first 2 shown]
	v_sub_f32_e32 v64, v84, v88
	v_mul_f32_e32 v84, 0x3f116cb1, v63
	v_fmamk_f32 v85, v64, 0x3f52af12, v84
	v_fmac_f32_e32 v84, 0xbf52af12, v64
	v_add_f32_e32 v65, v84, v65
	v_mul_f32_e32 v84, 0xbeb58ec6, v63
	v_add_f32_e32 v67, v85, v67
	v_fmamk_f32 v85, v64, 0x3f6f5d39, v84
	v_fmac_f32_e32 v84, 0xbf6f5d39, v64
	v_add_f32_e32 v77, v84, v77
	v_mul_f32_e32 v84, 0xbf788fa5, v63
	v_add_f32_e32 v85, v85, v87
	v_fmamk_f32 v87, v64, 0x3e750f2a, v84
	v_fmac_f32_e32 v84, 0xbe750f2a, v64
	v_mul_f32_e32 v88, 0xbf3f9e67, v63
	v_add_f32_e32 v84, v84, v91
	v_fmamk_f32 v90, v64, 0xbf29c268, v88
	v_fmac_f32_e32 v88, 0x3f29c268, v64
	v_mul_f32_e32 v91, 0x3df6dbef, v63
	v_mul_f32_e32 v63, 0x3f62ad3f, v63
	v_add_f32_e32 v88, v88, v93
	v_fmamk_f32 v93, v64, 0xbeedf032, v63
	v_fmac_f32_e32 v63, 0x3eedf032, v64
	v_add_f32_e32 v28, v63, v28
	v_add_f32_e32 v63, v81, v83
	;; [unrolled: 1-line block ×3, first 2 shown]
	v_fmamk_f32 v92, v64, 0xbf7e222b, v91
	v_fmac_f32_e32 v91, 0x3f7e222b, v64
	v_sub_f32_e32 v64, v80, v82
	v_mul_f32_e32 v80, 0x3df6dbef, v63
	v_fmamk_f32 v81, v64, 0x3f7e222b, v80
	v_fmac_f32_e32 v80, 0xbf7e222b, v64
	v_add_f32_e32 v65, v80, v65
	v_mul_f32_e32 v80, 0xbf788fa5, v63
	v_add_f32_e32 v67, v81, v67
	v_fmamk_f32 v81, v64, 0x3e750f2a, v80
	v_fmac_f32_e32 v80, 0xbe750f2a, v64
	v_add_f32_e32 v77, v80, v77
	v_mul_f32_e32 v80, 0xbeb58ec6, v63
	v_fmamk_f32 v82, v64, 0xbf6f5d39, v80
	v_fmac_f32_e32 v80, 0x3f6f5d39, v64
	v_mul_f32_e32 v83, 0x3f62ad3f, v63
	v_add_f32_e32 v81, v81, v85
	v_add_f32_e32 v80, v80, v84
	v_fmamk_f32 v84, v64, 0xbeedf032, v83
	v_fmac_f32_e32 v83, 0x3eedf032, v64
	v_mul_f32_e32 v85, 0x3f116cb1, v63
	v_mul_f32_e32 v63, 0xbf3f9e67, v63
	v_add_f32_e32 v83, v83, v88
	v_fmamk_f32 v88, v64, 0x3f29c268, v63
	v_fmac_f32_e32 v63, 0xbf29c268, v64
	v_add_f32_e32 v28, v63, v28
	v_add_f32_e32 v63, v76, v79
	;; [unrolled: 1-line block ×3, first 2 shown]
	v_fmamk_f32 v87, v64, 0x3f52af12, v85
	v_fmac_f32_e32 v85, 0xbf52af12, v64
	v_sub_f32_e32 v64, v75, v78
	v_mul_f32_e32 v75, 0xbeb58ec6, v63
	v_fmamk_f32 v76, v64, 0x3f6f5d39, v75
	v_fmac_f32_e32 v75, 0xbf6f5d39, v64
	v_add_f32_e32 v65, v75, v65
	v_mul_f32_e32 v75, 0xbf3f9e67, v63
	v_add_f32_e32 v67, v76, v67
	v_fmamk_f32 v76, v64, 0xbf29c268, v75
	v_fmac_f32_e32 v75, 0x3f29c268, v64
	v_add_f32_e32 v75, v75, v77
	v_mul_f32_e32 v77, 0x3f62ad3f, v63
	v_fmamk_f32 v78, v64, 0xbeedf032, v77
	v_fmac_f32_e32 v77, 0x3eedf032, v64
	v_mul_f32_e32 v79, 0x3df6dbef, v63
	v_add_f32_e32 v76, v76, v81
	v_add_f32_e32 v77, v77, v80
	v_fmamk_f32 v80, v64, 0x3f7e222b, v79
	v_fmac_f32_e32 v79, 0xbf7e222b, v64
	v_mul_f32_e32 v81, 0xbf788fa5, v63
	v_mul_f32_e32 v63, 0x3f116cb1, v63
	v_add_f32_e32 v79, v79, v83
	v_fmamk_f32 v83, v64, 0xbf52af12, v63
	v_fmac_f32_e32 v63, 0x3f52af12, v64
	v_add_f32_e32 v28, v63, v28
	v_add_f32_e32 v63, v69, v74
	;; [unrolled: 1-line block ×3, first 2 shown]
	v_fmamk_f32 v82, v64, 0xbe750f2a, v81
	v_fmac_f32_e32 v81, 0x3e750f2a, v64
	v_sub_f32_e32 v64, v68, v73
	v_mul_f32_e32 v68, 0xbf3f9e67, v63
	v_fmamk_f32 v69, v64, 0x3f29c268, v68
	v_fmac_f32_e32 v68, 0xbf29c268, v64
	v_add_f32_e32 v65, v68, v65
	v_mul_f32_e32 v68, 0x3df6dbef, v63
	v_add_f32_e32 v67, v69, v67
	v_fmamk_f32 v69, v64, 0xbf7e222b, v68
	v_fmac_f32_e32 v68, 0x3f7e222b, v64
	v_mul_f32_e32 v73, 0x3f116cb1, v63
	v_add_f32_e32 v59, v59, v61
	v_add_f32_e32 v68, v68, v75
	v_fmamk_f32 v74, v64, 0x3f52af12, v73
	v_fmac_f32_e32 v73, 0xbf52af12, v64
	v_mul_f32_e32 v75, 0xbf788fa5, v63
	v_sub_f32_e32 v58, v58, v60
	v_mul_f32_e32 v60, 0xbf788fa5, v59
	v_add_f32_e32 v69, v69, v76
	v_add_f32_e32 v73, v73, v77
	v_fmamk_f32 v76, v64, 0xbe750f2a, v75
	v_fmac_f32_e32 v75, 0x3e750f2a, v64
	v_mul_f32_e32 v77, 0x3f62ad3f, v63
	v_mul_f32_e32 v63, 0xbeb58ec6, v63
	v_fmamk_f32 v61, v58, 0x3e750f2a, v60
	v_fmac_f32_e32 v60, 0xbe750f2a, v58
	v_add_f32_e32 v74, v74, v78
	v_add_f32_e32 v75, v75, v79
	v_fmamk_f32 v78, v64, 0xbeedf032, v77
	v_fmac_f32_e32 v77, 0x3eedf032, v64
	v_fmamk_f32 v79, v64, 0x3f6f5d39, v63
	v_fmac_f32_e32 v63, 0xbf6f5d39, v64
	v_add_f32_e32 v64, v60, v65
	v_mul_f32_e32 v60, 0x3f62ad3f, v59
	v_add_f32_e32 v28, v63, v28
	v_add_f32_e32 v63, v61, v67
	v_fmamk_f32 v61, v58, 0xbeedf032, v60
	v_fmac_f32_e32 v60, 0x3eedf032, v58
	v_add_f32_e32 v67, v60, v68
	v_mul_f32_e32 v60, 0xbf3f9e67, v59
	v_add_f32_e32 v90, v90, v94
	v_add_f32_e32 v65, v61, v69
	v_fmamk_f32 v61, v58, 0x3f29c268, v60
	v_fmac_f32_e32 v60, 0xbf29c268, v58
	v_add_f32_e32 v91, v91, v95
	v_add_f32_e32 v84, v84, v90
	;; [unrolled: 1-line block ×3, first 2 shown]
	v_mul_f32_e32 v60, 0x3f116cb1, v59
	v_add_f32_e32 v92, v92, v96
	v_add_f32_e32 v85, v85, v91
	;; [unrolled: 1-line block ×4, first 2 shown]
	v_fmamk_f32 v61, v58, 0xbf52af12, v60
	v_fmac_f32_e32 v60, 0x3f52af12, v58
	v_add_f32_e32 v87, v87, v92
	v_add_f32_e32 v81, v81, v85
	v_add_f32_e32 v76, v76, v80
	v_add_f32_e32 v74, v60, v75
	v_mul_f32_e32 v60, 0xbeb58ec6, v59
	v_add_f32_e32 v82, v82, v87
	v_add_f32_e32 v77, v77, v81
	;; [unrolled: 1-line block ×3, first 2 shown]
	v_fmamk_f32 v61, v58, 0x3f6f5d39, v60
	v_fmac_f32_e32 v60, 0xbf6f5d39, v58
	v_mul_f32_e32 v59, 0x3df6dbef, v59
	v_add_f32_e32 v78, v78, v82
	v_add_f32_e32 v76, v60, v77
	v_fmamk_f32 v60, v58, 0xbf7e222b, v59
	v_fmac_f32_e32 v59, 0x3f7e222b, v58
	v_add_f32_e32 v75, v61, v78
	v_add_f32_e32 v78, v59, v28
	;; [unrolled: 1-line block ×20, first 2 shown]
	v_sub_f32_e32 v54, v54, v56
	v_mul_f32_e32 v55, 0x3df6dbef, v28
	v_fmamk_f32 v56, v54, 0x3f7e222b, v55
	v_add_f32_e32 v57, v29, v56
	v_mul_f32_e32 v56, 0xbeb58ec6, v28
	v_fmamk_f32 v58, v54, 0x3f6f5d39, v56
	v_fmac_f32_e32 v56, 0xbf6f5d39, v54
	v_add_f32_e32 v59, v29, v56
	v_mul_f32_e32 v56, 0xbf3f9e67, v28
	v_fmamk_f32 v60, v54, 0x3f29c268, v56
	v_fmac_f32_e32 v56, 0xbf29c268, v54
	;; [unrolled: 4-line block ×3, first 2 shown]
	v_add_f32_e32 v81, v29, v56
	v_add_f32_e32 v56, v53, v51
	v_fmac_f32_e32 v55, 0xbf7e222b, v54
	v_sub_f32_e32 v52, v52, v49
	v_mul_f32_e32 v49, 0xbf788fa5, v56
	v_add_f32_e32 v50, v50, v37
	v_add_f32_e32 v55, v29, v55
	v_fmamk_f32 v51, v52, 0x3e750f2a, v49
	v_fmac_f32_e32 v49, 0xbe750f2a, v52
	v_sub_f32_e32 v48, v48, v47
	v_mul_f32_e32 v37, 0xbeb58ec6, v50
	v_add_f32_e32 v46, v46, v39
	v_add_f32_e32 v49, v49, v55
	v_mul_f32_e32 v53, 0xbf3f9e67, v56
	v_fmamk_f32 v47, v48, 0xbf6f5d39, v37
	v_fmac_f32_e32 v37, 0x3f6f5d39, v48
	v_sub_f32_e32 v44, v44, v45
	v_mul_f32_e32 v39, 0x3f62ad3f, v46
	v_add_f32_e32 v42, v42, v41
	v_add_f32_e32 v58, v29, v58
	;; [unrolled: 1-line block ×3, first 2 shown]
	v_fmamk_f32 v55, v52, 0xbf29c268, v53
	v_fmac_f32_e32 v53, 0x3f29c268, v52
	v_mul_f32_e32 v57, 0x3df6dbef, v56
	v_add_f32_e32 v37, v37, v49
	v_mul_f32_e32 v49, 0x3f62ad3f, v50
	v_fmamk_f32 v45, v44, 0xbeedf032, v39
	v_fmac_f32_e32 v39, 0x3eedf032, v44
	v_sub_f32_e32 v40, v40, v43
	v_mul_f32_e32 v41, 0x3f116cb1, v42
	v_add_f32_e32 v60, v29, v60
	v_add_f32_e32 v55, v55, v58
	v_add_f32_e32 v53, v53, v59
	v_fmamk_f32 v58, v52, 0xbf7e222b, v57
	v_mul_f32_e32 v59, 0x3f62ad3f, v56
	v_add_f32_e32 v47, v47, v51
	v_fmamk_f32 v51, v48, 0xbeedf032, v49
	v_fmac_f32_e32 v49, 0x3eedf032, v48
	v_add_f32_e32 v37, v39, v37
	v_mul_f32_e32 v39, 0x3df6dbef, v46
	v_fmamk_f32 v43, v40, 0x3f52af12, v41
	v_fmac_f32_e32 v41, 0xbf52af12, v40
	v_add_f32_e32 v80, v29, v80
	v_add_f32_e32 v58, v58, v60
	v_fmac_f32_e32 v57, 0x3f7e222b, v52
	v_fmamk_f32 v60, v52, 0xbeedf032, v59
	v_add_f32_e32 v49, v49, v53
	v_mul_f32_e32 v53, 0x3f116cb1, v50
	v_add_f32_e32 v45, v45, v47
	v_fmamk_f32 v47, v44, 0x3f7e222b, v39
	v_fmac_f32_e32 v39, 0xbf7e222b, v44
	v_add_f32_e32 v37, v41, v37
	v_mul_f32_e32 v41, 0xbf788fa5, v42
	v_add_f32_e32 v57, v57, v61
	v_add_f32_e32 v60, v60, v80
	;; [unrolled: 1-line block ×3, first 2 shown]
	v_fmamk_f32 v55, v48, 0x3f52af12, v53
	v_fmac_f32_e32 v53, 0xbf52af12, v48
	v_add_f32_e32 v39, v39, v49
	v_mul_f32_e32 v49, 0xbf788fa5, v46
	v_add_f32_e32 v80, v43, v45
	v_fmamk_f32 v43, v40, 0xbe750f2a, v41
	v_fmac_f32_e32 v41, 0x3e750f2a, v40
	v_fmac_f32_e32 v59, 0x3eedf032, v52
	v_add_f32_e32 v53, v53, v57
	v_mul_f32_e32 v57, 0xbf3f9e67, v50
	v_add_f32_e32 v47, v47, v51
	v_fmamk_f32 v51, v44, 0xbe750f2a, v49
	v_fmac_f32_e32 v49, 0x3e750f2a, v44
	v_add_f32_e32 v39, v41, v39
	v_mul_f32_e32 v41, 0x3f62ad3f, v42
	s_mov_b32 s8, 0x3f116cb1
	v_add_f32_e32 v59, v59, v81
	v_add_f32_e32 v55, v55, v58
	v_fmamk_f32 v58, v48, 0x3f29c268, v57
	v_add_f32_e32 v49, v49, v53
	v_mul_f32_e32 v53, 0x3f116cb1, v46
	v_add_f32_e32 v81, v43, v47
	v_fmamk_f32 v43, v40, 0xbeedf032, v41
	v_fmac_f32_e32 v41, 0x3eedf032, v40
	s_mov_b32 s9, 0x3f62ad3f
	s_mov_b32 s16, 0xbf52af12
	v_add_f32_e32 v58, v58, v60
	v_fmac_f32_e32 v57, 0xbf29c268, v48
	v_add_f32_e32 v51, v51, v55
	v_fmamk_f32 v55, v44, 0xbf52af12, v53
	v_add_f32_e32 v83, v41, v49
	v_mul_f32_e32 v41, 0xbeb58ec6, v42
	s_mov_b32 s17, 0xbeedf032
	v_add_f32_e32 v57, v57, v59
	v_add_f32_e32 v55, v55, v58
	;; [unrolled: 1-line block ×3, first 2 shown]
	v_fmamk_f32 v43, v40, 0x3f6f5d39, v41
	v_pk_mul_f32 v[58:59], v[28:29], s[8:9] op_sel_hi:[0,1]
	s_mov_b32 s10, 0xbf788fa5
	s_mov_b32 s20, 0xbeb58ec6
	v_fmac_f32_e32 v53, 0x3f52af12, v44
	v_add_f32_e32 v84, v43, v55
	v_pk_fma_f32 v[60:61], v[54:55], s[16:17], v[58:59] op_sel_hi:[0,1,1] neg_lo:[1,0,0] neg_hi:[1,0,0]
	v_pk_fma_f32 v[54:55], v[54:55], s[16:17], v[58:59] op_sel_hi:[0,1,1]
	v_mov_b32_e32 v28, v29
	s_mov_b32 s21, s8
	s_mov_b32 s11, 0x3df6dbef
	;; [unrolled: 1-line block ×3, first 2 shown]
	v_add_f32_e32 v53, v53, v57
	v_fmac_f32_e32 v41, 0xbf6f5d39, v40
	v_add_f32_e32 v38, v5, v38
	v_sub_f32_e32 v36, v3, v36
	v_add_f32_e32 v3, v29, v61
	v_add_f32_e32 v5, v29, v60
	v_pk_add_f32 v[28:29], v[28:29], v[54:55] op_sel_hi:[0,1]
	v_pk_mul_f32 v[54:55], v[56:57], s[20:21] op_sel_hi:[0,1]
	s_mov_b32 s23, s16
	s_mov_b32 s13, 0xbf7e222b
	;; [unrolled: 1-line block ×3, first 2 shown]
	v_add_f32_e32 v85, v41, v53
	v_pk_fma_f32 v[56:57], v[52:53], s[22:23], v[54:55] op_sel_hi:[0,1,1] neg_lo:[1,0,0] neg_hi:[1,0,0]
	v_pk_fma_f32 v[52:53], v[52:53], s[22:23], v[54:55] op_sel_hi:[0,1,1]
	v_pk_mul_f32 v[50:51], v[50:51], s[10:11] op_sel_hi:[0,1]
	s_mov_b32 s19, s20
	s_mov_b32 s14, 0x3f7e222b
	;; [unrolled: 1-line block ×3, first 2 shown]
	v_pk_add_f32 v[28:29], v[52:53], v[28:29]
	v_pk_fma_f32 v[52:53], v[48:49], s[12:13], v[50:51] op_sel_hi:[0,1,1] neg_lo:[1,0,0] neg_hi:[1,0,0]
	v_pk_fma_f32 v[48:49], v[48:49], s[12:13], v[50:51] op_sel_hi:[0,1,1]
	v_pk_mul_f32 v[46:47], v[46:47], s[18:19] op_sel_hi:[0,1]
	s_mov_b32 s25, s22
	s_mov_b32 s16, s11
	;; [unrolled: 1-line block ×4, first 2 shown]
	v_pk_add_f32 v[28:29], v[48:49], v[28:29]
	v_pk_fma_f32 v[48:49], v[44:45], s[24:25], v[46:47] op_sel_hi:[0,1,1] neg_lo:[1,0,0] neg_hi:[1,0,0]
	v_pk_fma_f32 v[44:45], v[44:45], s[24:25], v[46:47] op_sel_hi:[0,1,1]
	v_pk_mul_f32 v[42:43], v[42:43], s[16:17] op_sel_hi:[0,1]
	v_pk_add_f32 v[28:29], v[44:45], v[28:29]
	v_pk_fma_f32 v[44:45], v[40:41], s[14:15], v[42:43] op_sel_hi:[0,1,1] neg_lo:[1,0,0] neg_hi:[1,0,0]
	v_pk_fma_f32 v[40:41], v[40:41], s[14:15], v[42:43] op_sel_hi:[0,1,1]
	s_mov_b32 s8, s9
	s_mov_b32 s9, s10
	;; [unrolled: 1-line block ×3, first 2 shown]
	v_pk_add_f32 v[28:29], v[40:41], v[28:29]
	v_pk_mul_f32 v[40:41], v[38:39], s[8:9] op_sel_hi:[0,1]
	s_mov_b32 s7, s12
	v_add_f32_e32 v5, v56, v5
	v_pk_fma_f32 v[42:43], v[36:37], s[6:7], v[40:41] op_sel_hi:[0,1,1] neg_lo:[1,0,0] neg_hi:[1,0,0]
	v_pk_fma_f32 v[40:41], v[36:37], s[6:7], v[40:41] op_sel_hi:[0,1,1]
	v_add_f32_e32 v5, v52, v5
	v_pk_add_f32 v[28:29], v[40:41], v[28:29]
	v_mul_f32_e32 v40, 0xbf3f9e67, v38
	v_add_f32_e32 v5, v48, v5
	v_fmamk_f32 v41, v36, 0x3f29c268, v40
	v_fmac_f32_e32 v40, 0xbf29c268, v36
	v_add_f32_e32 v3, v57, v3
	v_add_f32_e32 v5, v44, v5
	;; [unrolled: 1-line block ×3, first 2 shown]
	v_mul_f32_e32 v40, 0x3f116cb1, v38
	v_add_f32_e32 v3, v53, v3
	v_add_f32_e32 v5, v42, v5
	v_fmamk_f32 v42, v36, 0xbf52af12, v40
	v_fmac_f32_e32 v40, 0x3f52af12, v36
	v_add_f32_e32 v3, v49, v3
	v_add_f32_e32 v39, v40, v39
	v_mul_f32_e32 v40, 0xbeb58ec6, v38
	v_mul_f32_e32 v38, 0x3df6dbef, v38
	v_add_f32_e32 v3, v45, v3
	v_fmamk_f32 v44, v36, 0xbf7e222b, v38
	v_fmac_f32_e32 v38, 0x3f7e222b, v36
	v_add_f32_e32 v3, v43, v3
	v_fmamk_f32 v43, v36, 0x3f6f5d39, v40
	v_fmac_f32_e32 v40, 0xbf6f5d39, v36
	v_add_f32_e32 v36, v38, v85
	v_add_u32_e32 v38, 0x400, v89
	v_add_f32_e32 v41, v41, v80
	v_add_f32_e32 v42, v42, v81
	;; [unrolled: 1-line block ×5, first 2 shown]
	s_waitcnt lgkmcnt(0)
	; wave barrier
	s_waitcnt lgkmcnt(0)
	ds_write2_b32 v89, v62, v63 offset1:26
	ds_write2_b32 v89, v65, v68 offset0:52 offset1:78
	ds_write2_b32 v89, v73, v75 offset0:104 offset1:130
	;; [unrolled: 1-line block ×5, first 2 shown]
	ds_write_b32 v89, v64 offset:1248
	ds_write2_b32 v86, v79, v3 offset1:26
	ds_write2_b32 v86, v5, v41 offset0:52 offset1:78
	ds_write2_b32 v86, v42, v43 offset0:104 offset1:130
	;; [unrolled: 1-line block ×4, first 2 shown]
	v_add_u32_e32 v3, 0x400, v86
	ds_write2_b32 v3, v37, v28 offset0:4 offset1:30
	ds_write_b32 v86, v29 offset:1248
	v_add_u32_e32 v3, 0x400, v66
	v_add_u32_e32 v5, 0x800, v66
	;; [unrolled: 1-line block ×3, first 2 shown]
	s_waitcnt lgkmcnt(0)
	; wave barrier
	s_waitcnt lgkmcnt(0)
	ds_read2_b32 v[50:51], v66 offset1:52
	ds_read2_b32 v[60:61], v3 offset0:82 offset1:134
	ds_read2_b32 v[62:63], v5 offset0:164 offset1:216
	;; [unrolled: 1-line block ×5, first 2 shown]
	v_add_u32_e32 v3, 0xc00, v66
	v_add_u32_e32 v36, 0x1000, v66
	;; [unrolled: 1-line block ×3, first 2 shown]
	ds_read2_b32 v[54:55], v3 offset0:12 offset1:64
	ds_read2_b32 v[48:49], v36 offset0:94 offset1:146
	;; [unrolled: 1-line block ×6, first 2 shown]
	s_and_saveexec_b64 s[6:7], vcc
	s_xor_b64 s[6:7], exec, s[6:7]
; %bb.14:
                                        ; implicit-def: $vgpr66
                                        ; implicit-def: $vgpr25
; %bb.15:
	s_or_saveexec_b64 s[6:7], s[6:7]
                                        ; implicit-def: $vgpr36
                                        ; implicit-def: $vgpr38
	s_xor_b64 exec, exec, s[6:7]
	s_cbranch_execz .LBB0_17
; %bb.16:
	ds_read_b32 v28, v66 offset:1248
	ds_read_b32 v29, v66 offset:2600
	;; [unrolled: 1-line block ×4, first 2 shown]
	v_mov_b32_e32 v72, v25
	s_or_b64 exec, exec, s[6:7]
	s_and_saveexec_b64 s[6:7], s[0:1]
	s_cbranch_execz .LBB0_20
	s_branch .LBB0_18
.LBB0_17:
	s_or_b64 exec, exec, s[6:7]
	s_and_saveexec_b64 s[6:7], s[0:1]
	s_cbranch_execz .LBB0_20
.LBB0_18:
	v_mul_u32_u24_e32 v3, 3, v24
	v_lshlrev_b32_e32 v3, 3, v3
	global_load_dwordx4 v[74:77], v3, s[4:5] offset:2688
	global_load_dwordx2 v[90:91], v3, s[4:5] offset:2704
	v_mov_b32_e32 v3, 0xffffff64
	v_mov_b32_e32 v47, 0
	;; [unrolled: 1-line block ×3, first 2 shown]
	v_mad_u32_u24 v46, v70, 3, v3
	v_mov_b32_e32 v25, 0xfffffe2c
	v_lshl_add_u64 v[66:67], v[46:47], 3, s[4:5]
	v_mad_u32_u24 v46, v70, 3, v5
	v_mov_b32_e32 v37, 0xfffffd90
	v_lshl_add_u64 v[92:93], v[46:47], 3, s[4:5]
	v_mad_u32_u24 v46, v70, 3, v25
	v_lshl_add_u64 v[86:87], v[46:47], 3, s[4:5]
	v_mad_u32_u24 v46, v70, 3, v37
	v_lshl_add_u64 v[56:57], v[46:47], 3, s[4:5]
	global_load_dwordx4 v[78:81], v[56:57], off offset:2688
	global_load_dwordx2 v[94:95], v[56:57], off offset:2704
	global_load_dwordx2 v[96:97], v[86:87], off offset:2704
	global_load_dwordx4 v[82:85], v[86:87], off offset:2688
	global_load_dwordx2 v[116:117], v[92:93], off offset:2704
	s_nop 0
	global_load_dwordx4 v[86:89], v[92:93], off offset:2688
	s_waitcnt lgkmcnt(9)
	v_mov_b32_e32 v46, v63
	v_mov_b32_e32 v102, v61
	s_waitcnt lgkmcnt(8)
	v_mov_b32_e32 v108, v65
	v_mov_b32_e32 v98, v33
	;; [unrolled: 1-line block ×8, first 2 shown]
	s_waitcnt lgkmcnt(3)
	v_mov_b32_e32 v13, v58
	v_mov_b32_e32 v58, v21
	;; [unrolled: 1-line block ×9, first 2 shown]
	s_movk_i32 s0, 0x1000
	v_lshl_add_u64 v[50:51], v[24:25], 3, v[26:27]
	v_add_co_u32_e32 v114, vcc, s0, v50
	s_movk_i32 s1, 0x2000
	s_nop 0
	v_addc_co_u32_e32 v115, vcc, 0, v51, vcc
	v_mul_u32_u24_e32 v3, 3, v70
	v_lshlrev_b32_e32 v3, 3, v3
	s_mov_b32 s8, 0x60f25deb
	s_mov_b64 s[6:7], 0x680
	s_waitcnt vmcnt(7)
	v_pk_mul_f32 v[62:63], v[62:63], v[76:77] op_sel_hi:[0,1]
	v_pk_mul_f32 v[60:61], v[60:61], v[74:75] op_sel_hi:[0,1]
	s_waitcnt vmcnt(6)
	v_pk_mul_f32 v[64:65], v[64:65], v[90:91] op_sel_hi:[0,1]
	v_pk_fma_f32 v[92:93], v[32:33], v[76:77], v[62:63] op_sel:[0,0,1] op_sel_hi:[1,1,0]
	v_pk_fma_f32 v[32:33], v[32:33], v[76:77], v[62:63] op_sel:[0,0,1] op_sel_hi:[0,1,0] neg_lo:[1,0,0] neg_hi:[1,0,0]
	v_pk_fma_f32 v[62:63], v[30:31], v[74:75], v[60:61] op_sel:[0,0,1] op_sel_hi:[1,1,0]
	v_pk_fma_f32 v[30:31], v[30:31], v[74:75], v[60:61] op_sel:[0,0,1] op_sel_hi:[0,1,0] neg_lo:[1,0,0] neg_hi:[1,0,0]
	;; [unrolled: 2-line block ×3, first 2 shown]
	v_mov_b32_e32 v93, v33
	v_mov_b32_e32 v63, v31
	;; [unrolled: 1-line block ×3, first 2 shown]
	v_pk_add_f32 v[30:31], v[22:23], v[92:93] neg_lo:[0,1] neg_hi:[0,1]
	v_pk_add_f32 v[32:33], v[62:63], v[60:61] neg_lo:[0,1] neg_hi:[0,1]
	v_pk_fma_f32 v[22:23], v[22:23], 2.0, v[30:31] op_sel_hi:[1,0,1] neg_lo:[0,0,1] neg_hi:[0,0,1]
	v_pk_fma_f32 v[34:35], v[62:63], 2.0, v[32:33] op_sel_hi:[1,0,1] neg_lo:[0,0,1] neg_hi:[0,0,1]
	v_pk_add_f32 v[60:61], v[30:31], v[32:33] op_sel:[0,1] op_sel_hi:[1,0]
	v_pk_add_f32 v[32:33], v[30:31], v[32:33] op_sel:[0,1] op_sel_hi:[1,0] neg_lo:[0,1] neg_hi:[0,1]
	s_waitcnt vmcnt(5)
	v_pk_mul_f32 v[62:63], v[46:47], v[80:81] op_sel_hi:[0,1]
	v_pk_mul_f32 v[64:65], v[102:103], v[78:79] op_sel_hi:[0,1]
	s_waitcnt vmcnt(4)
	v_pk_mul_f32 v[74:75], v[108:109], v[94:95] op_sel_hi:[0,1]
	v_pk_add_f32 v[34:35], v[22:23], v[34:35] neg_lo:[0,1] neg_hi:[0,1]
	v_mov_b32_e32 v61, v33
	v_pk_fma_f32 v[32:33], v[98:99], v[80:81], v[62:63] op_sel:[0,0,1] op_sel_hi:[1,1,0]
	v_pk_fma_f32 v[62:63], v[100:101], v[80:81], v[62:63] op_sel:[0,0,1] op_sel_hi:[0,1,0] neg_lo:[1,0,0] neg_hi:[1,0,0]
	v_pk_fma_f32 v[76:77], v[104:105], v[78:79], v[64:65] op_sel:[0,0,1] op_sel_hi:[1,1,0]
	v_pk_fma_f32 v[64:65], v[106:107], v[78:79], v[64:65] op_sel:[0,0,1] op_sel_hi:[0,1,0] neg_lo:[1,0,0] neg_hi:[1,0,0]
	;; [unrolled: 2-line block ×3, first 2 shown]
	v_pk_fma_f32 v[22:23], v[22:23], 2.0, v[34:35] op_sel_hi:[1,0,1] neg_lo:[0,0,1] neg_hi:[0,0,1]
	v_pk_fma_f32 v[30:31], v[30:31], 2.0, v[60:61] op_sel_hi:[1,0,1] neg_lo:[0,0,1] neg_hi:[0,0,1]
	v_mov_b32_e32 v33, v63
	v_mov_b32_e32 v77, v65
	;; [unrolled: 1-line block ×3, first 2 shown]
	global_store_dwordx2 v[114:115], v[34:35], off offset:1312
	global_store_dwordx2 v[114:115], v[60:61], off offset:4016
	global_store_dwordx2 v[50:51], v[22:23], off
	global_store_dwordx2 v[50:51], v[30:31], off offset:2704
	v_pk_add_f32 v[22:23], v[68:69], v[32:33] neg_lo:[0,1] neg_hi:[0,1]
	v_pk_add_f32 v[30:31], v[76:77], v[78:79] neg_lo:[0,1] neg_hi:[0,1]
	v_pk_fma_f32 v[32:33], v[68:69], 2.0, v[22:23] op_sel_hi:[1,0,1] neg_lo:[0,0,1] neg_hi:[0,0,1]
	v_pk_fma_f32 v[34:35], v[76:77], 2.0, v[30:31] op_sel_hi:[1,0,1] neg_lo:[0,0,1] neg_hi:[0,0,1]
	v_pk_add_f32 v[60:61], v[22:23], v[30:31] op_sel:[0,1] op_sel_hi:[1,0]
	v_pk_add_f32 v[30:31], v[22:23], v[30:31] op_sel:[0,1] op_sel_hi:[1,0] neg_lo:[0,1] neg_hi:[0,1]
	v_pk_add_f32 v[34:35], v[32:33], v[34:35] neg_lo:[0,1] neg_hi:[0,1]
	v_mov_b32_e32 v61, v31
	v_pk_fma_f32 v[32:33], v[32:33], 2.0, v[34:35] op_sel_hi:[1,0,1] neg_lo:[0,0,1] neg_hi:[0,0,1]
	v_pk_fma_f32 v[22:23], v[22:23], 2.0, v[60:61] op_sel_hi:[1,0,1] neg_lo:[0,0,1] neg_hi:[0,0,1]
	global_store_dwordx2 v[50:51], v[32:33], off offset:416
	global_store_dwordx2 v[50:51], v[22:23], off offset:3120
	;; [unrolled: 1-line block ×3, first 2 shown]
	v_add_co_u32_e32 v34, vcc, s1, v50
	global_load_dwordx2 v[22:23], v[66:67], off offset:2704
	global_load_dwordx4 v[30:33], v[66:67], off offset:2688
	v_addc_co_u32_e32 v35, vcc, 0, v51, vcc
	global_store_dwordx2 v[34:35], v[60:61], off offset:336
	s_waitcnt vmcnt(12)
	v_pk_mul_f32 v[60:61], v[54:55], v[84:85] op_sel_hi:[0,1]
	v_pk_fma_f32 v[62:63], v[18:19], v[84:85], v[60:61] op_sel:[0,0,1] op_sel_hi:[1,1,0]
	v_pk_fma_f32 v[60:61], v[18:19], v[84:85], v[60:61] op_sel:[0,0,1] op_sel_hi:[0,1,0] neg_lo:[1,0,0] neg_hi:[1,0,0]
	v_mov_b32_e32 v63, v61
	v_pk_add_f32 v[60:61], v[20:21], v[62:63] neg_lo:[0,1] neg_hi:[0,1]
	v_pk_mul_f32 v[62:63], v[52:53], v[82:83] op_sel_hi:[0,1]
	v_pk_fma_f32 v[64:65], v[16:17], v[82:83], v[62:63] op_sel:[0,0,1] op_sel_hi:[1,1,0]
	v_pk_fma_f32 v[62:63], v[16:17], v[82:83], v[62:63] op_sel:[0,0,1] op_sel_hi:[0,1,0] neg_lo:[1,0,0] neg_hi:[1,0,0]
	v_mov_b32_e32 v65, v63
	v_pk_mul_f32 v[62:63], v[48:49], v[96:97] op_sel_hi:[0,1]
	v_pk_fma_f32 v[66:67], v[14:15], v[96:97], v[62:63] op_sel:[0,0,1] op_sel_hi:[1,1,0]
	v_pk_fma_f32 v[62:63], v[14:15], v[96:97], v[62:63] op_sel:[0,0,1] op_sel_hi:[0,1,0] neg_lo:[1,0,0] neg_hi:[1,0,0]
	v_mov_b32_e32 v67, v63
	v_pk_add_f32 v[62:63], v[64:65], v[66:67] neg_lo:[0,1] neg_hi:[0,1]
	v_pk_fma_f32 v[20:21], v[20:21], 2.0, v[60:61] op_sel_hi:[1,0,1] neg_lo:[0,0,1] neg_hi:[0,0,1]
	v_pk_fma_f32 v[64:65], v[64:65], 2.0, v[62:63] op_sel_hi:[1,0,1] neg_lo:[0,0,1] neg_hi:[0,0,1]
	v_mov_b32_e32 v14, v55
	v_pk_add_f32 v[64:65], v[20:21], v[64:65] neg_lo:[0,1] neg_hi:[0,1]
	v_or_b32_e32 v46, 0x340, v24
	v_pk_fma_f32 v[20:21], v[20:21], 2.0, v[64:65] op_sel_hi:[1,0,1] neg_lo:[0,0,1] neg_hi:[0,0,1]
	global_store_dwordx2 v[50:51], v[20:21], off offset:832
	v_pk_add_f32 v[20:21], v[60:61], v[62:63] op_sel:[0,1] op_sel_hi:[1,0]
	v_pk_add_f32 v[62:63], v[60:61], v[62:63] op_sel:[0,1] op_sel_hi:[1,0] neg_lo:[0,1] neg_hi:[0,1]
	s_waitcnt vmcnt(2) lgkmcnt(1)
	v_pk_mul_f32 v[24:25], v[44:45], v[32:33] op_sel_hi:[0,1]
	v_mov_b32_e32 v21, v63
	v_pk_fma_f32 v[60:61], v[60:61], 2.0, v[20:21] op_sel_hi:[1,0,1] neg_lo:[0,0,1] neg_hi:[0,0,1]
	global_store_dwordx2 v[50:51], v[60:61], off offset:3536
	global_store_dwordx2 v[114:115], v[64:65], off offset:2144
	;; [unrolled: 1-line block ×3, first 2 shown]
	v_pk_mul_f32 v[20:21], v[14:15], v[88:89] op_sel_hi:[0,1]
	v_mov_b32_e32 v14, v19
	v_pk_fma_f32 v[54:55], v[14:15], v[88:89], v[20:21] op_sel:[0,0,1] op_sel_hi:[1,1,0]
	v_pk_fma_f32 v[18:19], v[14:15], v[88:89], v[20:21] op_sel:[0,0,1] op_sel_hi:[0,1,0] neg_lo:[1,0,0] neg_hi:[1,0,0]
	v_mov_b32_e32 v55, v19
	v_mov_b32_e32 v14, v53
	global_load_dwordx2 v[52:53], v3, s[4:5] offset:2704
	global_load_dwordx4 v[18:21], v3, s[4:5] offset:2688
	v_pk_mul_f32 v[60:61], v[14:15], v[86:87] op_sel_hi:[0,1]
	v_mov_b32_e32 v14, v17
	v_pk_fma_f32 v[62:63], v[14:15], v[86:87], v[60:61] op_sel:[0,0,1] op_sel_hi:[1,1,0]
	v_pk_fma_f32 v[16:17], v[14:15], v[86:87], v[60:61] op_sel:[0,0,1] op_sel_hi:[0,1,0] neg_lo:[1,0,0] neg_hi:[1,0,0]
	v_mov_b32_e32 v14, v49
	v_mov_b32_e32 v63, v17
	v_pk_mul_f32 v[16:17], v[14:15], v[116:117] op_sel_hi:[0,1]
	v_mov_b32_e32 v14, v15
	v_pk_fma_f32 v[48:49], v[14:15], v[116:117], v[16:17] op_sel:[0,0,1] op_sel_hi:[1,1,0]
	v_pk_fma_f32 v[14:15], v[14:15], v[116:117], v[16:17] op_sel:[0,0,1] op_sel_hi:[0,1,0] neg_lo:[1,0,0] neg_hi:[1,0,0]
	v_mov_b32_e32 v49, v15
	v_pk_add_f32 v[54:55], v[58:59], v[54:55] neg_lo:[0,1] neg_hi:[0,1]
	v_pk_add_f32 v[14:15], v[62:63], v[48:49] neg_lo:[0,1] neg_hi:[0,1]
	v_pk_fma_f32 v[16:17], v[58:59], 2.0, v[54:55] op_sel_hi:[1,0,1] neg_lo:[0,0,1] neg_hi:[0,0,1]
	v_pk_fma_f32 v[48:49], v[62:63], 2.0, v[14:15] op_sel_hi:[1,0,1] neg_lo:[0,0,1] neg_hi:[0,0,1]
	v_mul_hi_u32 v3, v71, s8
	v_pk_add_f32 v[48:49], v[16:17], v[48:49] neg_lo:[0,1] neg_hi:[0,1]
	v_lshrrev_b32_e32 v3, 7, v3
	v_pk_fma_f32 v[16:17], v[16:17], 2.0, v[48:49] op_sel_hi:[1,0,1] neg_lo:[0,0,1] neg_hi:[0,0,1]
	global_store_dwordx2 v[50:51], v[16:17], off offset:1248
	v_pk_add_f32 v[16:17], v[54:55], v[14:15] op_sel:[0,1] op_sel_hi:[1,0]
	v_pk_add_f32 v[14:15], v[54:55], v[14:15] op_sel:[0,1] op_sel_hi:[1,0] neg_lo:[0,1] neg_hi:[0,1]
	s_nop 0
	v_mov_b32_e32 v17, v15
	v_pk_fma_f32 v[14:15], v[54:55], 2.0, v[16:17] op_sel_hi:[1,0,1] neg_lo:[0,0,1] neg_hi:[0,0,1]
	global_store_dwordx2 v[50:51], v[14:15], off offset:3952
	v_lshl_add_u64 v[14:15], v[46:47], 3, v[26:27]
	v_pk_fma_f32 v[26:27], v[10:11], v[32:33], v[24:25] op_sel:[0,0,1] op_sel_hi:[1,1,0]
	v_pk_fma_f32 v[24:25], v[10:11], v[32:33], v[24:25] op_sel:[0,0,1] op_sel_hi:[0,1,0] neg_lo:[1,0,0] neg_hi:[1,0,0]
	v_mov_b32_e32 v27, v25
	v_pk_add_f32 v[24:25], v[12:13], v[26:27] neg_lo:[0,1] neg_hi:[0,1]
	v_pk_mul_f32 v[26:27], v[42:43], v[30:31] op_sel_hi:[0,1]
	v_pk_fma_f32 v[32:33], v[8:9], v[30:31], v[26:27] op_sel:[0,0,1] op_sel_hi:[1,1,0]
	v_pk_fma_f32 v[26:27], v[8:9], v[30:31], v[26:27] op_sel:[0,0,1] op_sel_hi:[0,1,0] neg_lo:[1,0,0] neg_hi:[1,0,0]
	v_mov_b32_e32 v33, v27
	s_waitcnt lgkmcnt(0)
	v_pk_mul_f32 v[26:27], v[40:41], v[22:23] op_sel_hi:[0,1]
	v_pk_fma_f32 v[30:31], v[6:7], v[22:23], v[26:27] op_sel:[0,0,1] op_sel_hi:[1,1,0]
	v_pk_fma_f32 v[22:23], v[6:7], v[22:23], v[26:27] op_sel:[0,0,1] op_sel_hi:[0,1,0] neg_lo:[1,0,0] neg_hi:[1,0,0]
	v_mov_b32_e32 v31, v23
	v_pk_add_f32 v[22:23], v[32:33], v[30:31] neg_lo:[0,1] neg_hi:[0,1]
	v_pk_fma_f32 v[12:13], v[12:13], 2.0, v[24:25] op_sel_hi:[1,0,1] neg_lo:[0,0,1] neg_hi:[0,0,1]
	v_pk_fma_f32 v[26:27], v[32:33], 2.0, v[22:23] op_sel_hi:[1,0,1] neg_lo:[0,0,1] neg_hi:[0,0,1]
	v_mul_u32_u24_e32 v46, 0x3f6, v3
	v_pk_add_f32 v[26:27], v[12:13], v[26:27] neg_lo:[0,1] neg_hi:[0,1]
	global_store_dwordx2 v[14:15], v[48:49], off
	global_store_dwordx2 v[34:35], v[16:17], off offset:1168
	v_lshl_add_u64 v[14:15], v[46:47], 3, v[50:51]
	v_pk_fma_f32 v[12:13], v[12:13], 2.0, v[26:27] op_sel_hi:[1,0,1] neg_lo:[0,0,1] neg_hi:[0,0,1]
	global_store_dwordx2 v[14:15], v[12:13], off offset:1664
	v_pk_add_f32 v[12:13], v[24:25], v[22:23] op_sel:[0,1] op_sel_hi:[1,0]
	v_pk_add_f32 v[22:23], v[24:25], v[22:23] op_sel:[0,1] op_sel_hi:[1,0] neg_lo:[0,1] neg_hi:[0,1]
	v_lshl_add_u64 v[16:17], v[14:15], 0, s[6:7]
	v_mov_b32_e32 v13, v23
	v_pk_fma_f32 v[22:23], v[24:25], 2.0, v[12:13] op_sel_hi:[1,0,1] neg_lo:[0,0,1] neg_hi:[0,0,1]
	global_store_dwordx2 v[16:17], v[22:23], off offset:2704
	v_add_co_u32_e32 v16, vcc, s0, v14
	v_mov_b32_e32 v8, v45
	s_nop 0
	v_addc_co_u32_e32 v17, vcc, 0, v15, vcc
	global_store_dwordx2 v[16:17], v[26:27], off offset:2976
	v_mov_b32_e32 v6, v11
	v_mul_hi_u32 v3, v70, s8
	v_add_co_u32_e32 v14, vcc, s1, v14
	v_lshrrev_b32_e32 v3, 7, v3
	s_nop 0
	v_addc_co_u32_e32 v15, vcc, 0, v15, vcc
	v_mul_u32_u24_e32 v46, 0x3f6, v3
	global_store_dwordx2 v[14:15], v[12:13], off offset:1584
	v_lshl_add_u64 v[12:13], v[46:47], 3, v[50:51]
	s_mov_b64 s[0:1], 0x820
	v_lshl_add_u64 v[14:15], v[12:13], 0, s[0:1]
	s_waitcnt vmcnt(8)
	v_pk_mul_f32 v[16:17], v[8:9], v[20:21] op_sel_hi:[0,1]
	v_pk_fma_f32 v[22:23], v[6:7], v[20:21], v[16:17] op_sel:[0,0,1] op_sel_hi:[1,1,0]
	v_pk_fma_f32 v[10:11], v[6:7], v[20:21], v[16:17] op_sel:[0,0,1] op_sel_hi:[0,1,0] neg_lo:[1,0,0] neg_hi:[1,0,0]
	v_mov_b32_e32 v6, v43
	v_pk_mul_f32 v[16:17], v[6:7], v[18:19] op_sel_hi:[0,1]
	v_mov_b32_e32 v6, v9
	v_pk_fma_f32 v[20:21], v[6:7], v[18:19], v[16:17] op_sel:[0,0,1] op_sel_hi:[1,1,0]
	v_pk_fma_f32 v[8:9], v[6:7], v[18:19], v[16:17] op_sel:[0,0,1] op_sel_hi:[0,1,0] neg_lo:[1,0,0] neg_hi:[1,0,0]
	v_mov_b32_e32 v6, v41
	v_mov_b32_e32 v21, v9
	v_pk_mul_f32 v[8:9], v[6:7], v[52:53] op_sel_hi:[0,1]
	v_mov_b32_e32 v6, v7
	v_pk_fma_f32 v[16:17], v[6:7], v[52:53], v[8:9] op_sel:[0,0,1] op_sel_hi:[1,1,0]
	v_pk_fma_f32 v[6:7], v[6:7], v[52:53], v[8:9] op_sel:[0,0,1] op_sel_hi:[0,1,0] neg_lo:[1,0,0] neg_hi:[1,0,0]
	v_mov_b32_e32 v23, v11
	v_mov_b32_e32 v17, v7
	v_pk_add_f32 v[10:11], v[56:57], v[22:23] neg_lo:[0,1] neg_hi:[0,1]
	v_pk_add_f32 v[6:7], v[20:21], v[16:17] neg_lo:[0,1] neg_hi:[0,1]
	v_pk_fma_f32 v[8:9], v[56:57], 2.0, v[10:11] op_sel_hi:[1,0,1] neg_lo:[0,0,1] neg_hi:[0,0,1]
	v_pk_fma_f32 v[16:17], v[20:21], 2.0, v[6:7] op_sel_hi:[1,0,1] neg_lo:[0,0,1] neg_hi:[0,0,1]
	s_nop 0
	v_pk_add_f32 v[16:17], v[8:9], v[16:17] neg_lo:[0,1] neg_hi:[0,1]
	s_nop 0
	v_pk_fma_f32 v[8:9], v[8:9], 2.0, v[16:17] op_sel_hi:[1,0,1] neg_lo:[0,0,1] neg_hi:[0,0,1]
	global_store_dwordx2 v[12:13], v[8:9], off offset:2080
	v_pk_add_f32 v[8:9], v[10:11], v[6:7] op_sel:[0,1] op_sel_hi:[1,0]
	v_pk_add_f32 v[6:7], v[10:11], v[6:7] op_sel:[0,1] op_sel_hi:[1,0] neg_lo:[0,1] neg_hi:[0,1]
	s_nop 0
	v_mov_b32_e32 v9, v7
	v_pk_fma_f32 v[6:7], v[10:11], 2.0, v[8:9] op_sel_hi:[1,0,1] neg_lo:[0,0,1] neg_hi:[0,0,1]
	global_store_dwordx2 v[14:15], v[6:7], off offset:2704
	v_add_co_u32_e32 v6, vcc, 0x1000, v12
	s_nop 1
	v_addc_co_u32_e32 v7, vcc, 0, v13, vcc
	global_store_dwordx2 v[6:7], v[16:17], off offset:3392
	v_add_co_u32_e32 v6, vcc, 0x2000, v12
	s_nop 1
	v_addc_co_u32_e32 v7, vcc, 0, v13, vcc
	global_store_dwordx2 v[6:7], v[8:9], off offset:2000
	s_and_b64 exec, exec, s[2:3]
	s_cbranch_execz .LBB0_20
; %bb.19:
	v_mul_i32_i24_e32 v46, 3, v72
	v_lshl_add_u64 v[10:11], v[46:47], 3, s[4:5]
	global_load_dwordx4 v[6:9], v[10:11], off offset:2688
	global_load_dwordx2 v[12:13], v[10:11], off offset:2704
	v_mov_b32_e32 v10, v0
	v_mov_b32_e32 v11, v28
	v_add_co_u32_e32 v14, vcc, 0x1000, v50
	s_waitcnt vmcnt(1)
	v_pk_mul_f32 v[18:19], v[28:29], v[6:7] op_sel:[1,0]
	v_pk_mul_f32 v[20:21], v[36:37], v[8:9] op_sel_hi:[0,1]
	s_waitcnt vmcnt(0)
	v_pk_mul_f32 v[22:23], v[38:39], v[12:13] op_sel_hi:[0,1]
	v_pk_fma_f32 v[24:25], v[0:1], v[6:7], v[18:19] op_sel:[1,0,1] op_sel_hi:[1,1,0]
	v_pk_fma_f32 v[0:1], v[0:1], v[6:7], v[18:19] op_sel:[1,0,1] op_sel_hi:[1,1,0] neg_lo:[1,0,0] neg_hi:[1,0,0]
	v_pk_fma_f32 v[6:7], v[2:3], v[8:9], v[20:21] op_sel:[0,0,1] op_sel_hi:[1,1,0]
	v_pk_fma_f32 v[2:3], v[2:3], v[8:9], v[20:21] op_sel:[0,0,1] op_sel_hi:[0,1,0] neg_lo:[1,0,0] neg_hi:[1,0,0]
	;; [unrolled: 2-line block ×3, first 2 shown]
	v_mov_b32_e32 v25, v1
	v_mov_b32_e32 v7, v3
	v_mov_b32_e32 v9, v5
	v_pk_add_f32 v[0:1], v[10:11], v[6:7] neg_lo:[0,1] neg_hi:[0,1]
	v_pk_add_f32 v[2:3], v[24:25], v[8:9] neg_lo:[0,1] neg_hi:[0,1]
	v_addc_co_u32_e32 v15, vcc, 0, v51, vcc
	v_pk_fma_f32 v[4:5], v[10:11], 2.0, v[0:1] op_sel_hi:[1,0,1] neg_lo:[0,0,1] neg_hi:[0,0,1]
	v_pk_fma_f32 v[6:7], v[24:25], 2.0, v[2:3] op_sel_hi:[1,0,1] neg_lo:[0,0,1] neg_hi:[0,0,1]
	v_pk_add_f32 v[8:9], v[0:1], v[2:3] op_sel:[0,1] op_sel_hi:[1,0]
	v_pk_add_f32 v[2:3], v[0:1], v[2:3] op_sel:[0,1] op_sel_hi:[1,0] neg_lo:[0,1] neg_hi:[0,1]
	v_add_co_u32_e32 v16, vcc, 0x2000, v50
	v_pk_add_f32 v[6:7], v[4:5], v[6:7] neg_lo:[0,1] neg_hi:[0,1]
	v_mov_b32_e32 v9, v3
	v_addc_co_u32_e32 v17, vcc, 0, v51, vcc
	v_pk_fma_f32 v[2:3], v[4:5], 2.0, v[6:7] op_sel_hi:[1,0,1] neg_lo:[0,0,1] neg_hi:[0,0,1]
	v_pk_fma_f32 v[0:1], v[0:1], 2.0, v[8:9] op_sel_hi:[1,0,1] neg_lo:[0,0,1] neg_hi:[0,0,1]
	global_store_dwordx2 v[14:15], v[6:7], off offset:3808
	global_store_dwordx2 v[50:51], v[2:3], off offset:2496
	;; [unrolled: 1-line block ×4, first 2 shown]
	s_endpgm
.LBB0_20:
	s_endpgm
	.section	.rodata,"a",@progbits
	.p2align	6, 0x0
	.amdhsa_kernel fft_rtc_back_len1352_factors_2_13_13_4_wgs_52_tpt_52_halfLds_sp_ip_CI_unitstride_sbrr_dirReg
		.amdhsa_group_segment_fixed_size 0
		.amdhsa_private_segment_fixed_size 0
		.amdhsa_kernarg_size 88
		.amdhsa_user_sgpr_count 2
		.amdhsa_user_sgpr_dispatch_ptr 0
		.amdhsa_user_sgpr_queue_ptr 0
		.amdhsa_user_sgpr_kernarg_segment_ptr 1
		.amdhsa_user_sgpr_dispatch_id 0
		.amdhsa_user_sgpr_kernarg_preload_length 0
		.amdhsa_user_sgpr_kernarg_preload_offset 0
		.amdhsa_user_sgpr_private_segment_size 0
		.amdhsa_uses_dynamic_stack 0
		.amdhsa_enable_private_segment 0
		.amdhsa_system_sgpr_workgroup_id_x 1
		.amdhsa_system_sgpr_workgroup_id_y 0
		.amdhsa_system_sgpr_workgroup_id_z 0
		.amdhsa_system_sgpr_workgroup_info 0
		.amdhsa_system_vgpr_workitem_id 0
		.amdhsa_next_free_vgpr 140
		.amdhsa_next_free_sgpr 26
		.amdhsa_accum_offset 140
		.amdhsa_reserve_vcc 1
		.amdhsa_float_round_mode_32 0
		.amdhsa_float_round_mode_16_64 0
		.amdhsa_float_denorm_mode_32 3
		.amdhsa_float_denorm_mode_16_64 3
		.amdhsa_dx10_clamp 1
		.amdhsa_ieee_mode 1
		.amdhsa_fp16_overflow 0
		.amdhsa_tg_split 0
		.amdhsa_exception_fp_ieee_invalid_op 0
		.amdhsa_exception_fp_denorm_src 0
		.amdhsa_exception_fp_ieee_div_zero 0
		.amdhsa_exception_fp_ieee_overflow 0
		.amdhsa_exception_fp_ieee_underflow 0
		.amdhsa_exception_fp_ieee_inexact 0
		.amdhsa_exception_int_div_zero 0
	.end_amdhsa_kernel
	.text
.Lfunc_end0:
	.size	fft_rtc_back_len1352_factors_2_13_13_4_wgs_52_tpt_52_halfLds_sp_ip_CI_unitstride_sbrr_dirReg, .Lfunc_end0-fft_rtc_back_len1352_factors_2_13_13_4_wgs_52_tpt_52_halfLds_sp_ip_CI_unitstride_sbrr_dirReg
                                        ; -- End function
	.section	.AMDGPU.csdata,"",@progbits
; Kernel info:
; codeLenInByte = 16896
; NumSgprs: 32
; NumVgprs: 140
; NumAgprs: 0
; TotalNumVgprs: 140
; ScratchSize: 0
; MemoryBound: 0
; FloatMode: 240
; IeeeMode: 1
; LDSByteSize: 0 bytes/workgroup (compile time only)
; SGPRBlocks: 3
; VGPRBlocks: 17
; NumSGPRsForWavesPerEU: 32
; NumVGPRsForWavesPerEU: 140
; AccumOffset: 140
; Occupancy: 3
; WaveLimiterHint : 1
; COMPUTE_PGM_RSRC2:SCRATCH_EN: 0
; COMPUTE_PGM_RSRC2:USER_SGPR: 2
; COMPUTE_PGM_RSRC2:TRAP_HANDLER: 0
; COMPUTE_PGM_RSRC2:TGID_X_EN: 1
; COMPUTE_PGM_RSRC2:TGID_Y_EN: 0
; COMPUTE_PGM_RSRC2:TGID_Z_EN: 0
; COMPUTE_PGM_RSRC2:TIDIG_COMP_CNT: 0
; COMPUTE_PGM_RSRC3_GFX90A:ACCUM_OFFSET: 34
; COMPUTE_PGM_RSRC3_GFX90A:TG_SPLIT: 0
	.text
	.p2alignl 6, 3212836864
	.fill 256, 4, 3212836864
	.type	__hip_cuid_3c7828ddd376fa3,@object ; @__hip_cuid_3c7828ddd376fa3
	.section	.bss,"aw",@nobits
	.globl	__hip_cuid_3c7828ddd376fa3
__hip_cuid_3c7828ddd376fa3:
	.byte	0                               ; 0x0
	.size	__hip_cuid_3c7828ddd376fa3, 1

	.ident	"AMD clang version 19.0.0git (https://github.com/RadeonOpenCompute/llvm-project roc-6.4.0 25133 c7fe45cf4b819c5991fe208aaa96edf142730f1d)"
	.section	".note.GNU-stack","",@progbits
	.addrsig
	.addrsig_sym __hip_cuid_3c7828ddd376fa3
	.amdgpu_metadata
---
amdhsa.kernels:
  - .agpr_count:     0
    .args:
      - .actual_access:  read_only
        .address_space:  global
        .offset:         0
        .size:           8
        .value_kind:     global_buffer
      - .offset:         8
        .size:           8
        .value_kind:     by_value
      - .actual_access:  read_only
        .address_space:  global
        .offset:         16
        .size:           8
        .value_kind:     global_buffer
      - .actual_access:  read_only
        .address_space:  global
        .offset:         24
        .size:           8
        .value_kind:     global_buffer
      - .offset:         32
        .size:           8
        .value_kind:     by_value
      - .actual_access:  read_only
        .address_space:  global
        .offset:         40
        .size:           8
        .value_kind:     global_buffer
      - .actual_access:  read_only
        .address_space:  global
        .offset:         48
        .size:           8
        .value_kind:     global_buffer
      - .offset:         56
        .size:           4
        .value_kind:     by_value
      - .actual_access:  read_only
        .address_space:  global
        .offset:         64
        .size:           8
        .value_kind:     global_buffer
      - .actual_access:  read_only
        .address_space:  global
        .offset:         72
        .size:           8
        .value_kind:     global_buffer
      - .address_space:  global
        .offset:         80
        .size:           8
        .value_kind:     global_buffer
    .group_segment_fixed_size: 0
    .kernarg_segment_align: 8
    .kernarg_segment_size: 88
    .language:       OpenCL C
    .language_version:
      - 2
      - 0
    .max_flat_workgroup_size: 52
    .name:           fft_rtc_back_len1352_factors_2_13_13_4_wgs_52_tpt_52_halfLds_sp_ip_CI_unitstride_sbrr_dirReg
    .private_segment_fixed_size: 0
    .sgpr_count:     32
    .sgpr_spill_count: 0
    .symbol:         fft_rtc_back_len1352_factors_2_13_13_4_wgs_52_tpt_52_halfLds_sp_ip_CI_unitstride_sbrr_dirReg.kd
    .uniform_work_group_size: 1
    .uses_dynamic_stack: false
    .vgpr_count:     140
    .vgpr_spill_count: 0
    .wavefront_size: 64
amdhsa.target:   amdgcn-amd-amdhsa--gfx950
amdhsa.version:
  - 1
  - 2
...

	.end_amdgpu_metadata
